;; amdgpu-corpus repo=ROCm/rocFFT kind=compiled arch=gfx950 opt=O3
	.text
	.amdgcn_target "amdgcn-amd-amdhsa--gfx950"
	.amdhsa_code_object_version 6
	.protected	fft_rtc_fwd_len3000_factors_10_3_10_10_wgs_100_tpt_100_halfLds_sp_op_CI_CI_sbrr_dirReg ; -- Begin function fft_rtc_fwd_len3000_factors_10_3_10_10_wgs_100_tpt_100_halfLds_sp_op_CI_CI_sbrr_dirReg
	.globl	fft_rtc_fwd_len3000_factors_10_3_10_10_wgs_100_tpt_100_halfLds_sp_op_CI_CI_sbrr_dirReg
	.p2align	8
	.type	fft_rtc_fwd_len3000_factors_10_3_10_10_wgs_100_tpt_100_halfLds_sp_op_CI_CI_sbrr_dirReg,@function
fft_rtc_fwd_len3000_factors_10_3_10_10_wgs_100_tpt_100_halfLds_sp_op_CI_CI_sbrr_dirReg: ; @fft_rtc_fwd_len3000_factors_10_3_10_10_wgs_100_tpt_100_halfLds_sp_op_CI_CI_sbrr_dirReg
; %bb.0:
	s_load_dwordx4 s[12:15], s[0:1], 0x18
	s_load_dwordx4 s[4:7], s[0:1], 0x0
	;; [unrolled: 1-line block ×3, first 2 shown]
	v_mul_u32_u24_e32 v1, 0x290, v0
	v_add_u32_sdwa v4, s2, v1 dst_sel:DWORD dst_unused:UNUSED_PAD src0_sel:DWORD src1_sel:WORD_1
	s_waitcnt lgkmcnt(0)
	s_load_dwordx2 s[18:19], s[12:13], 0x0
	s_load_dwordx2 s[16:17], s[14:15], 0x0
	v_mov_b32_e32 v2, 0
	v_cmp_lt_u64_e64 s[2:3], s[6:7], 2
	v_mov_b32_e32 v5, v2
	s_and_b64 vcc, exec, s[2:3]
	v_mov_b64_e32 v[60:61], 0
	s_cbranch_vccnz .LBB0_8
; %bb.1:
	s_load_dwordx2 s[2:3], s[0:1], 0x10
	s_add_u32 s20, s14, 8
	s_addc_u32 s21, s15, 0
	s_add_u32 s22, s12, 8
	s_addc_u32 s23, s13, 0
	s_waitcnt lgkmcnt(0)
	s_add_u32 s24, s2, 8
	v_mov_b64_e32 v[60:61], 0
	s_addc_u32 s25, s3, 0
	s_mov_b64 s[26:27], 1
	v_mov_b64_e32 v[36:37], v[60:61]
.LBB0_2:                                ; =>This Inner Loop Header: Depth=1
	s_load_dwordx2 s[28:29], s[24:25], 0x0
                                        ; implicit-def: $vgpr38_vgpr39
	s_waitcnt lgkmcnt(0)
	v_or_b32_e32 v3, s29, v5
	v_cmp_ne_u64_e32 vcc, 0, v[2:3]
	s_and_saveexec_b64 s[2:3], vcc
	s_xor_b64 s[30:31], exec, s[2:3]
	s_cbranch_execz .LBB0_4
; %bb.3:                                ;   in Loop: Header=BB0_2 Depth=1
	v_cvt_f32_u32_e32 v1, s28
	v_cvt_f32_u32_e32 v3, s29
	s_sub_u32 s2, 0, s28
	s_subb_u32 s3, 0, s29
	v_fmac_f32_e32 v1, 0x4f800000, v3
	v_rcp_f32_e32 v1, v1
	s_nop 0
	v_mul_f32_e32 v1, 0x5f7ffffc, v1
	v_mul_f32_e32 v3, 0x2f800000, v1
	v_trunc_f32_e32 v3, v3
	v_fmac_f32_e32 v1, 0xcf800000, v3
	v_cvt_u32_f32_e32 v3, v3
	v_cvt_u32_f32_e32 v1, v1
	v_mul_lo_u32 v6, s2, v3
	v_mul_hi_u32 v8, s2, v1
	v_mul_lo_u32 v7, s3, v1
	v_add_u32_e32 v8, v8, v6
	v_mul_lo_u32 v10, s2, v1
	v_add_u32_e32 v11, v8, v7
	v_mul_hi_u32 v6, v1, v10
	v_mul_hi_u32 v9, v1, v11
	v_mul_lo_u32 v8, v1, v11
	v_mov_b32_e32 v7, v2
	v_lshl_add_u64 v[6:7], v[6:7], 0, v[8:9]
	v_mul_hi_u32 v9, v3, v10
	v_mul_lo_u32 v10, v3, v10
	v_add_co_u32_e32 v6, vcc, v6, v10
	v_mul_hi_u32 v8, v3, v11
	s_nop 0
	v_addc_co_u32_e32 v6, vcc, v7, v9, vcc
	v_mov_b32_e32 v7, v2
	s_nop 0
	v_addc_co_u32_e32 v9, vcc, 0, v8, vcc
	v_mul_lo_u32 v8, v3, v11
	v_lshl_add_u64 v[6:7], v[6:7], 0, v[8:9]
	v_add_co_u32_e32 v1, vcc, v1, v6
	v_mul_lo_u32 v8, s2, v1
	s_nop 0
	v_addc_co_u32_e32 v3, vcc, v3, v7, vcc
	v_mul_lo_u32 v6, s2, v3
	v_mul_hi_u32 v7, s2, v1
	v_add_u32_e32 v6, v7, v6
	v_mul_lo_u32 v7, s3, v1
	v_add_u32_e32 v10, v6, v7
	v_mul_hi_u32 v12, v3, v8
	v_mul_lo_u32 v13, v3, v8
	v_mul_hi_u32 v7, v1, v10
	v_mul_lo_u32 v6, v1, v10
	v_mul_hi_u32 v8, v1, v8
	v_mov_b32_e32 v9, v2
	v_lshl_add_u64 v[6:7], v[8:9], 0, v[6:7]
	v_add_co_u32_e32 v6, vcc, v6, v13
	v_mul_hi_u32 v11, v3, v10
	s_nop 0
	v_addc_co_u32_e32 v6, vcc, v7, v12, vcc
	v_mul_lo_u32 v8, v3, v10
	s_nop 0
	v_addc_co_u32_e32 v9, vcc, 0, v11, vcc
	v_mov_b32_e32 v7, v2
	v_lshl_add_u64 v[6:7], v[6:7], 0, v[8:9]
	v_add_co_u32_e32 v1, vcc, v1, v6
	v_mul_hi_u32 v8, v4, v1
	s_nop 0
	v_addc_co_u32_e32 v3, vcc, v3, v7, vcc
	v_mad_u64_u32 v[6:7], s[2:3], v4, v3, 0
	v_mov_b32_e32 v9, v2
	v_lshl_add_u64 v[6:7], v[8:9], 0, v[6:7]
	v_mad_u64_u32 v[10:11], s[2:3], v5, v1, 0
	v_add_co_u32_e32 v1, vcc, v6, v10
	v_mad_u64_u32 v[8:9], s[2:3], v5, v3, 0
	s_nop 0
	v_addc_co_u32_e32 v6, vcc, v7, v11, vcc
	v_mov_b32_e32 v7, v2
	s_nop 0
	v_addc_co_u32_e32 v9, vcc, 0, v9, vcc
	v_lshl_add_u64 v[6:7], v[6:7], 0, v[8:9]
	v_mul_lo_u32 v1, s29, v6
	v_mul_lo_u32 v3, s28, v7
	v_mad_u64_u32 v[8:9], s[2:3], s28, v6, 0
	v_add3_u32 v1, v9, v3, v1
	v_sub_u32_e32 v3, v5, v1
	v_mov_b32_e32 v9, s29
	v_sub_co_u32_e32 v12, vcc, v4, v8
	v_lshl_add_u64 v[10:11], v[6:7], 0, 1
	s_nop 0
	v_subb_co_u32_e64 v3, s[2:3], v3, v9, vcc
	v_subrev_co_u32_e64 v8, s[2:3], s28, v12
	v_subb_co_u32_e32 v1, vcc, v5, v1, vcc
	s_nop 0
	v_subbrev_co_u32_e64 v3, s[2:3], 0, v3, s[2:3]
	v_cmp_le_u32_e64 s[2:3], s29, v3
	v_cmp_le_u32_e32 vcc, s29, v1
	s_nop 0
	v_cndmask_b32_e64 v9, 0, -1, s[2:3]
	v_cmp_le_u32_e64 s[2:3], s28, v8
	s_nop 1
	v_cndmask_b32_e64 v8, 0, -1, s[2:3]
	v_cmp_eq_u32_e64 s[2:3], s29, v3
	s_nop 1
	v_cndmask_b32_e64 v3, v9, v8, s[2:3]
	v_lshl_add_u64 v[8:9], v[6:7], 0, 2
	v_cmp_ne_u32_e64 s[2:3], 0, v3
	s_nop 1
	v_cndmask_b32_e64 v3, v11, v9, s[2:3]
	v_cndmask_b32_e64 v9, 0, -1, vcc
	v_cmp_le_u32_e32 vcc, s28, v12
	s_nop 1
	v_cndmask_b32_e64 v11, 0, -1, vcc
	v_cmp_eq_u32_e32 vcc, s29, v1
	s_nop 1
	v_cndmask_b32_e32 v1, v9, v11, vcc
	v_cmp_ne_u32_e32 vcc, 0, v1
	v_cndmask_b32_e64 v1, v10, v8, s[2:3]
	s_nop 0
	v_cndmask_b32_e32 v39, v7, v3, vcc
	v_cndmask_b32_e32 v38, v6, v1, vcc
.LBB0_4:                                ;   in Loop: Header=BB0_2 Depth=1
	s_andn2_saveexec_b64 s[2:3], s[30:31]
	s_cbranch_execz .LBB0_6
; %bb.5:                                ;   in Loop: Header=BB0_2 Depth=1
	v_cvt_f32_u32_e32 v1, s28
	s_sub_i32 s30, 0, s28
	v_mov_b32_e32 v39, v2
	v_rcp_iflag_f32_e32 v1, v1
	s_nop 0
	v_mul_f32_e32 v1, 0x4f7ffffe, v1
	v_cvt_u32_f32_e32 v1, v1
	v_mul_lo_u32 v3, s30, v1
	v_mul_hi_u32 v3, v1, v3
	v_add_u32_e32 v1, v1, v3
	v_mul_hi_u32 v1, v4, v1
	v_mul_lo_u32 v3, v1, s28
	v_sub_u32_e32 v3, v4, v3
	v_add_u32_e32 v6, 1, v1
	v_subrev_u32_e32 v7, s28, v3
	v_cmp_le_u32_e32 vcc, s28, v3
	s_nop 1
	v_cndmask_b32_e32 v3, v3, v7, vcc
	v_cndmask_b32_e32 v1, v1, v6, vcc
	v_add_u32_e32 v6, 1, v1
	v_cmp_le_u32_e32 vcc, s28, v3
	s_nop 1
	v_cndmask_b32_e32 v38, v1, v6, vcc
.LBB0_6:                                ;   in Loop: Header=BB0_2 Depth=1
	s_or_b64 exec, exec, s[2:3]
	v_mad_u64_u32 v[6:7], s[2:3], v38, s28, 0
	s_load_dwordx2 s[2:3], s[22:23], 0x0
	v_mul_lo_u32 v1, v39, s28
	v_mul_lo_u32 v3, v38, s29
	s_load_dwordx2 s[28:29], s[20:21], 0x0
	s_add_u32 s26, s26, 1
	v_add3_u32 v1, v7, v3, v1
	v_sub_co_u32_e32 v3, vcc, v4, v6
	s_addc_u32 s27, s27, 0
	s_nop 0
	v_subb_co_u32_e32 v1, vcc, v5, v1, vcc
	s_add_u32 s20, s20, 8
	s_waitcnt lgkmcnt(0)
	v_mul_lo_u32 v4, s2, v1
	v_mul_lo_u32 v5, s3, v3
	v_mad_u64_u32 v[60:61], s[2:3], s2, v3, v[60:61]
	s_addc_u32 s21, s21, 0
	v_add3_u32 v61, v5, v61, v4
	v_mul_lo_u32 v1, s28, v1
	v_mul_lo_u32 v4, s29, v3
	v_mad_u64_u32 v[36:37], s[2:3], s28, v3, v[36:37]
	s_add_u32 s22, s22, 8
	v_add3_u32 v37, v4, v37, v1
	s_addc_u32 s23, s23, 0
	v_mov_b64_e32 v[4:5], s[6:7]
	s_add_u32 s24, s24, 8
	v_cmp_ge_u64_e32 vcc, s[26:27], v[4:5]
	s_addc_u32 s25, s25, 0
	s_cbranch_vccnz .LBB0_9
; %bb.7:                                ;   in Loop: Header=BB0_2 Depth=1
	v_mov_b64_e32 v[4:5], v[38:39]
	s_branch .LBB0_2
.LBB0_8:
	v_mov_b64_e32 v[36:37], v[60:61]
	v_mov_b64_e32 v[38:39], v[4:5]
.LBB0_9:
	s_load_dwordx2 s[0:1], s[0:1], 0x28
	s_lshl_b64 s[2:3], s[6:7], 3
	s_add_u32 s6, s14, s2
	s_addc_u32 s7, s15, s3
                                        ; implicit-def: $vgpr4_vgpr5
                                        ; implicit-def: $vgpr2_vgpr3
                                        ; implicit-def: $vgpr6_vgpr7
                                        ; implicit-def: $vgpr40_vgpr41
                                        ; implicit-def: $vgpr158
                                        ; implicit-def: $vgpr159
	s_waitcnt lgkmcnt(0)
	v_cmp_gt_u64_e32 vcc, s[0:1], v[38:39]
	v_cmp_le_u64_e64 s[0:1], s[0:1], v[38:39]
	s_and_saveexec_b64 s[14:15], s[0:1]
	s_xor_b64 s[0:1], exec, s[14:15]
	s_cbranch_execz .LBB0_11
; %bb.10:
	s_mov_b32 s14, 0x28f5c29
	v_mul_hi_u32 v1, v0, s14
	v_mul_u32_u24_e32 v1, 0x64, v1
	v_sub_u32_e32 v158, v0, v1
	v_add_u32_e32 v159, 0x64, v158
	v_add_u32_e32 v41, 0xc8, v158
	;; [unrolled: 1-line block ×9, first 2 shown]
                                        ; implicit-def: $vgpr0
                                        ; implicit-def: $vgpr60_vgpr61
.LBB0_11:
	s_or_saveexec_b64 s[0:1], s[0:1]
                                        ; implicit-def: $vgpr1
                                        ; implicit-def: $vgpr28
                                        ; implicit-def: $vgpr63
                                        ; implicit-def: $vgpr50
                                        ; implicit-def: $vgpr83
                                        ; implicit-def: $vgpr70
                                        ; implicit-def: $vgpr16
                                        ; implicit-def: $vgpr8
                                        ; implicit-def: $vgpr34
                                        ; implicit-def: $vgpr42
                                        ; implicit-def: $vgpr44
                                        ; implicit-def: $vgpr18
                                        ; implicit-def: $vgpr14
                                        ; implicit-def: $vgpr56
                                        ; implicit-def: $vgpr48
                                        ; implicit-def: $vgpr58
                                        ; implicit-def: $vgpr32
                                        ; implicit-def: $vgpr20
                                        ; implicit-def: $vgpr78
                                        ; implicit-def: $vgpr76
                                        ; implicit-def: $vgpr74
                                        ; implicit-def: $vgpr26
                                        ; implicit-def: $vgpr52
                                        ; implicit-def: $vgpr68
                                        ; implicit-def: $vgpr10
                                        ; implicit-def: $vgpr30
                                        ; implicit-def: $vgpr12
                                        ; implicit-def: $vgpr54
                                        ; implicit-def: $vgpr22
                                        ; implicit-def: $vgpr66
                                        ; implicit-def: $vgpr72
                                        ; implicit-def: $vgpr46
                                        ; implicit-def: $vgpr24
	s_xor_b64 exec, exec, s[0:1]
	s_cbranch_execz .LBB0_13
; %bb.12:
	s_add_u32 s2, s12, s2
	s_addc_u32 s3, s13, s3
	s_load_dwordx2 s[2:3], s[2:3], 0x0
	s_mov_b32 s12, 0x28f5c29
	s_waitcnt lgkmcnt(0)
	v_mul_lo_u32 v1, s3, v38
	v_mul_lo_u32 v4, s2, v39
	v_mad_u64_u32 v[2:3], s[2:3], s2, v38, 0
	v_add3_u32 v3, v3, v4, v1
	v_mul_hi_u32 v1, v0, s12
	v_mul_u32_u24_e32 v1, 0x64, v1
	v_sub_u32_e32 v158, v0, v1
	v_lshl_add_u64 v[2:3], v[2:3], 3, s[8:9]
	v_lshl_add_u64 v[8:9], v[60:61], 3, v[2:3]
	v_add_u32_e32 v3, 0x4b0, v158
	v_mad_u64_u32 v[10:11], s[2:3], s18, v3, 0
	v_mov_b32_e32 v2, v11
	v_mad_u64_u32 v[2:3], s[2:3], s19, v3, v[2:3]
	v_add_u32_e32 v3, 0x5dc, v158
	v_mad_u64_u32 v[12:13], s[2:3], s18, v3, 0
	v_mov_b32_e32 v11, v2
	v_mov_b32_e32 v2, v13
	v_mad_u64_u32 v[2:3], s[2:3], s19, v3, v[2:3]
	v_add_u32_e32 v3, 0x708, v158
	v_mad_u64_u32 v[14:15], s[2:3], s18, v3, 0
	v_mov_b32_e32 v13, v2
	;; [unrolled: 5-line block ×4, first 2 shown]
	v_mov_b32_e32 v2, v21
	v_mad_u64_u32 v[2:3], s[2:3], s19, v3, v[2:3]
	v_add_u32_e32 v3, 0xa8c, v158
	v_mad_u64_u32 v[22:23], s[2:3], s18, v3, 0
	v_mad_u64_u32 v[0:1], s[2:3], s18, v158, 0
	v_mov_b32_e32 v21, v2
	v_mov_b32_e32 v2, v23
	v_mov_b32_e32 v4, v1
	v_mad_u64_u32 v[2:3], s[2:3], s19, v3, v[2:3]
	v_add_u32_e32 v159, 0x64, v158
	v_mad_u64_u32 v[4:5], s[2:3], s19, v158, v[4:5]
	v_mov_b32_e32 v23, v2
	v_mad_u64_u32 v[2:3], s[2:3], s18, v159, 0
	v_mov_b32_e32 v1, v4
	v_mov_b32_e32 v4, v3
	v_mad_u64_u32 v[4:5], s[2:3], s19, v159, v[4:5]
	v_mov_b32_e32 v3, v4
	v_lshl_add_u64 v[16:17], v[2:3], 3, v[8:9]
	v_add_u32_e32 v2, 0x258, v158
	v_mad_u64_u32 v[24:25], s[2:3], s18, v2, 0
	v_add_u32_e32 v3, 0x2bc, v158
	v_mov_b32_e32 v4, v25
	v_mad_u64_u32 v[4:5], s[2:3], s19, v2, v[4:5]
	v_mad_u64_u32 v[26:27], s[2:3], s18, v3, 0
	v_mov_b32_e32 v25, v4
	v_mov_b32_e32 v4, v27
	v_mad_u64_u32 v[4:5], s[2:3], s19, v3, v[4:5]
	v_add_u32_e32 v5, 0x3e8, v158
	v_mad_u64_u32 v[28:29], s[2:3], s18, v5, 0
	v_mov_b32_e32 v27, v4
	v_mov_b32_e32 v4, v29
	v_mad_u64_u32 v[4:5], s[2:3], s19, v5, v[4:5]
	v_add_u32_e32 v5, 0x514, v158
	;; [unrolled: 5-line block ×7, first 2 shown]
	v_mad_u64_u32 v[46:47], s[2:3], s18, v5, 0
	v_mov_b32_e32 v45, v4
	v_mov_b32_e32 v4, v47
	v_add_u32_e32 v40, 0x12c, v158
	v_mad_u64_u32 v[4:5], s[2:3], s19, v5, v[4:5]
	v_mad_u64_u32 v[48:49], s[2:3], s18, v40, 0
	v_mov_b32_e32 v47, v4
	v_mov_b32_e32 v4, v49
	v_add_u32_e32 v41, 0xc8, v158
	v_mad_u64_u32 v[4:5], s[2:3], s19, v40, v[4:5]
	v_mov_b32_e32 v49, v4
	v_mad_u64_u32 v[4:5], s[2:3], s18, v41, 0
	v_mov_b32_e32 v6, v5
	v_mad_u64_u32 v[6:7], s[2:3], s19, v41, v[6:7]
	v_mov_b32_e32 v5, v6
	v_add_u32_e32 v6, 0x190, v158
	v_mad_u64_u32 v[50:51], s[2:3], s18, v6, 0
	v_lshl_add_u64 v[52:53], v[4:5], 3, v[8:9]
	v_add_u32_e32 v7, 0x1f4, v158
	v_mov_b32_e32 v4, v51
	v_mad_u64_u32 v[4:5], s[2:3], s19, v6, v[4:5]
	v_mad_u64_u32 v[54:55], s[2:3], s18, v7, 0
	v_mov_b32_e32 v51, v4
	v_mov_b32_e32 v4, v55
	v_mad_u64_u32 v[4:5], s[2:3], s19, v7, v[4:5]
	v_add_u32_e32 v5, 0x384, v158
	v_mad_u64_u32 v[56:57], s[2:3], s18, v5, 0
	v_mov_b32_e32 v58, v57
	v_mov_b32_e32 v55, v4
	v_add_u32_e32 v4, 0x320, v158
	v_mad_u64_u32 v[58:59], s[2:3], s19, v5, v[58:59]
	v_mov_b32_e32 v57, v58
	v_mad_u64_u32 v[58:59], s[2:3], s18, v4, 0
	v_mov_b32_e32 v60, v59
	v_mad_u64_u32 v[60:61], s[2:3], s19, v4, v[60:61]
	v_add_u32_e32 v63, 0x44c, v158
	v_mov_b32_e32 v59, v60
	v_mad_u64_u32 v[60:61], s[2:3], s18, v63, 0
	v_mov_b32_e32 v62, v61
	v_mad_u64_u32 v[62:63], s[2:3], s19, v63, v[62:63]
	v_add_u32_e32 v65, 0x578, v158
	;; [unrolled: 5-line block ×7, first 2 shown]
	v_mov_b32_e32 v71, v72
	v_mad_u64_u32 v[72:73], s[2:3], s18, v75, 0
	v_mov_b32_e32 v74, v73
	v_mad_u64_u32 v[74:75], s[2:3], s19, v75, v[74:75]
	v_mov_b32_e32 v73, v74
	v_lshl_add_u64 v[10:11], v[10:11], 3, v[8:9]
	v_lshl_add_u64 v[12:13], v[12:13], 3, v[8:9]
	v_lshl_add_u64 v[14:15], v[14:15], 3, v[8:9]
	v_lshl_add_u64 v[82:83], v[22:23], 3, v[8:9]
	v_lshl_add_u64 v[22:23], v[24:25], 3, v[8:9]
	v_lshl_add_u64 v[76:77], v[26:27], 3, v[8:9]
	v_lshl_add_u64 v[86:87], v[30:31], 3, v[8:9]
	v_lshl_add_u64 v[88:89], v[34:35], 3, v[8:9]
	v_lshl_add_u64 v[90:91], v[42:43], 3, v[8:9]
	v_lshl_add_u64 v[92:93], v[44:45], 3, v[8:9]
	v_lshl_add_u64 v[30:31], v[46:47], 3, v[8:9]
	v_lshl_add_u64 v[34:35], v[48:49], 3, v[8:9]
	v_lshl_add_u64 v[42:43], v[50:51], 3, v[8:9]
	v_lshl_add_u64 v[44:45], v[54:55], 3, v[8:9]
	v_lshl_add_u64 v[54:55], v[56:57], 3, v[8:9]
	v_lshl_add_u64 v[56:57], v[58:59], 3, v[8:9]
	v_lshl_add_u64 v[58:59], v[60:61], 3, v[8:9]
	v_lshl_add_u64 v[60:61], v[62:63], 3, v[8:9]
	v_lshl_add_u64 v[0:1], v[0:1], 3, v[8:9]
	v_lshl_add_u64 v[18:19], v[18:19], 3, v[8:9]
	v_lshl_add_u64 v[80:81], v[20:21], 3, v[8:9]
	v_lshl_add_u64 v[84:85], v[28:29], 3, v[8:9]
	v_lshl_add_u64 v[32:33], v[32:33], 3, v[8:9]
	v_lshl_add_u64 v[62:63], v[64:65], 3, v[8:9]
	v_lshl_add_u64 v[64:65], v[66:67], 3, v[8:9]
	v_lshl_add_u64 v[94:95], v[68:69], 3, v[8:9]
	v_lshl_add_u64 v[96:97], v[70:71], 3, v[8:9]
	v_lshl_add_u64 v[98:99], v[72:73], 3, v[8:9]
	global_load_dwordx2 v[48:49], v[30:31], off
	global_load_dwordx2 v[50:51], v[42:43], off
	;; [unrolled: 1-line block ×15, first 2 shown]
                                        ; kill: killed $vgpr34_vgpr35
                                        ; kill: killed $vgpr14_vgpr15
                                        ; kill: killed $vgpr10_vgpr11
                                        ; kill: killed $vgpr56_vgpr57
                                        ; kill: killed $vgpr76_vgpr77
                                        ; kill: killed $vgpr44_vgpr45
                                        ; kill: killed $vgpr12_vgpr13
                                        ; kill: killed $vgpr58_vgpr59
                                        ; kill: killed $vgpr52_vgpr53
                                        ; kill: killed $vgpr60_vgpr61
                                        ; kill: killed $vgpr30_vgpr31
                                        ; kill: killed $vgpr54_vgpr55
                                        ; kill: killed $vgpr22_vgpr23
                                        ; kill: killed $vgpr0_vgpr1
                                        ; kill: killed $vgpr42_vgpr43
	global_load_dwordx2 v[52:53], v[84:85], off
	s_nop 0
	global_load_dwordx2 v[14:15], v[86:87], off
	global_load_dwordx2 v[60:61], v[16:17], off
	;; [unrolled: 1-line block ×14, first 2 shown]
	s_waitcnt vmcnt(24)
	v_mov_b32_e32 v83, v20
	v_mov_b32_e32 v20, v71
	s_waitcnt vmcnt(22)
	v_mov_b32_e32 v32, v69
	s_waitcnt vmcnt(21)
	;; [unrolled: 2-line block ×4, first 2 shown]
	v_mov_b32_e32 v1, v8
	v_mov_b32_e32 v8, v29
	;; [unrolled: 1-line block ×3, first 2 shown]
	s_waitcnt vmcnt(16)
	v_mov_b32_e32 v33, v73
	s_waitcnt vmcnt(15)
	v_mov_b32_e32 v19, v47
	v_mov_b32_e32 v69, v102
	;; [unrolled: 1-line block ×4, first 2 shown]
	s_waitcnt vmcnt(14)
	v_mov_b32_e32 v18, v53
	s_waitcnt vmcnt(13)
	v_mov_b32_e32 v63, v14
	v_mov_b32_e32 v14, v51
	s_waitcnt vmcnt(12)
	v_mov_b32_e32 v53, v60
	v_mov_b32_e32 v47, v61
.LBB0_13:
	s_or_b64 exec, exec, s[0:1]
	s_waitcnt vmcnt(10)
	v_mov_b32_e32 v124, v22
	v_mov_b32_e32 v125, v72
	;; [unrolled: 1-line block ×3, first 2 shown]
	v_pk_add_f32 v[60:61], v[124:125], v[82:83] neg_lo:[0,1] neg_hi:[0,1]
	s_waitcnt vmcnt(9)
	v_mov_b32_e32 v64, v79
	v_mov_b32_e32 v0, v61
	v_pk_add_f32 v[122:123], v[60:61], v[0:1]
	v_mov_b32_e32 v60, v77
	v_mov_b32_e32 v61, v32
	;; [unrolled: 1-line block ×3, first 2 shown]
	v_pk_add_f32 v[88:89], v[60:61], v[64:65] neg_lo:[0,1] neg_hi:[0,1]
	v_pk_add_f32 v[80:81], v[18:19], v[14:15]
	v_pk_add_f32 v[60:61], v[18:19], v[14:15] neg_lo:[0,1] neg_hi:[0,1]
	s_waitcnt vmcnt(7)
	v_mov_b32_e32 v64, v57
	v_mov_b32_e32 v81, v61
	;; [unrolled: 1-line block ×4, first 2 shown]
	s_waitcnt vmcnt(5)
	v_mov_b32_e32 v65, v59
	v_pk_add_f32 v[84:85], v[60:61], v[64:65] neg_lo:[0,1] neg_hi:[0,1]
	v_pk_add_f32 v[60:61], v[16:17], v[8:9]
	v_pk_add_f32 v[64:65], v[16:17], v[8:9] neg_lo:[0,1] neg_hi:[0,1]
	s_waitcnt vmcnt(4)
	v_mov_b32_e32 v86, v35
	v_mov_b32_e32 v61, v65
	s_waitcnt vmcnt(0)
	v_mov_b32_e32 v64, v43
	v_mov_b32_e32 v65, v16
	v_mov_b32_e32 v87, v45
	v_pk_add_f32 v[64:65], v[64:65], v[86:87] neg_lo:[0,1] neg_hi:[0,1]
	v_pk_add_f32 v[86:87], v[10:11], v[30:31] neg_lo:[0,1] neg_hi:[0,1]
	;; [unrolled: 1-line block ×3, first 2 shown]
	v_mov_b32_e32 v86, v45
	v_pk_add_f32 v[60:61], v[86:87], v[60:61]
	v_pk_add_f32 v[86:87], v[42:43], v[34:35] neg_lo:[0,1] neg_hi:[0,1]
	s_mov_b32 s0, 0x3e9e377a
	v_mov_b32_e32 v87, v86
	v_mov_b32_e32 v86, v64
	;; [unrolled: 1-line block ×4, first 2 shown]
	v_pk_add_f32 v[86:87], v[86:87], v[64:65]
	v_mov_b32_e32 v118, v26
	v_mov_b32_e32 v119, v16
	;; [unrolled: 1-line block ×3, first 2 shown]
	v_pk_add_f32 v[64:65], v[34:35], v[44:45]
	s_mov_b32 s1, 0x3f167918
	v_pk_add_f32 v[116:117], v[44:45], v[34:35] neg_lo:[0,1] neg_hi:[0,1]
	v_pk_add_f32 v[92:93], v[118:119], v[42:43] neg_lo:[0,1] neg_hi:[0,1]
	v_pk_fma_f32 v[94:95], v[64:65], 0.5, v[28:29] op_sel_hi:[1,0,1] neg_lo:[1,0,0] neg_hi:[1,0,0]
	s_mov_b32 s2, 0x3f737871
	s_mov_b32 s3, s1
	v_mov_b32_e32 v96, v92
	v_mov_b32_e32 v97, v116
	;; [unrolled: 1-line block ×3, first 2 shown]
	v_pk_fma_f32 v[64:65], v[96:97], s[2:3], v[0:1] neg_lo:[1,0,0] neg_hi:[1,0,0]
	v_pk_add_f32 v[90:91], v[16:17], v[24:25]
	v_mov_b32_e32 v51, v64
	v_pk_fma_f32 v[64:65], v[96:97], s[2:3], v[50:51] neg_lo:[1,0,0] neg_hi:[1,0,0]
	v_pk_mul_f32 v[112:113], v[86:87], s[0:1] op_sel_hi:[1,0]
	v_mov_b32_e32 v64, v91
	v_mov_b32_e32 v90, v9
	;; [unrolled: 1-line block ×3, first 2 shown]
	v_pk_add_f32 v[64:65], v[90:91], v[64:65]
	v_pk_add_f32 v[90:91], v[12:13], v[54:55] neg_lo:[0,1] neg_hi:[0,1]
	v_pk_add_f32 v[98:99], v[52:53], v[58:59] neg_lo:[0,1] neg_hi:[0,1]
	v_mov_b32_e32 v90, v59
	v_pk_add_f32 v[80:81], v[90:91], v[80:81]
	v_pk_add_f32 v[90:91], v[48:49], v[56:57] neg_lo:[0,1] neg_hi:[0,1]
	v_mov_b32_e32 v156, v52
	v_mov_b32_e32 v91, v90
	;; [unrolled: 1-line block ×5, first 2 shown]
	v_pk_add_f32 v[134:135], v[90:91], v[84:85]
	v_mov_b32_e32 v157, v18
	v_mov_b32_e32 v51, v14
	v_pk_add_f32 v[84:85], v[56:57], v[58:59]
	v_pk_add_f32 v[154:155], v[58:59], v[56:57] neg_lo:[0,1] neg_hi:[0,1]
	v_pk_add_f32 v[138:139], v[156:157], v[48:49] neg_lo:[0,1] neg_hi:[0,1]
	v_pk_fma_f32 v[140:141], v[84:85], 0.5, v[50:51] op_sel_hi:[1,0,1] neg_lo:[1,0,0] neg_hi:[1,0,0]
	v_mov_b32_e32 v142, v138
	v_mov_b32_e32 v143, v154
	;; [unrolled: 1-line block ×3, first 2 shown]
	v_pk_fma_f32 v[84:85], v[142:143], s[2:3], v[0:1] neg_lo:[1,0,0] neg_hi:[1,0,0]
	v_pk_add_f32 v[90:91], v[18:19], v[46:47]
	v_mov_b32_e32 v71, v84
	v_pk_fma_f32 v[84:85], v[142:143], s[2:3], v[70:71] neg_lo:[1,0,0] neg_hi:[1,0,0]
	v_pk_mul_f32 v[152:153], v[134:135], s[0:1] op_sel_hi:[1,0]
	v_mov_b32_e32 v84, v91
	v_mov_b32_e32 v90, v15
	;; [unrolled: 1-line block ×3, first 2 shown]
	v_pk_add_f32 v[84:85], v[90:91], v[84:85]
	v_mov_b32_e32 v90, v68
	v_mov_b32_e32 v91, v32
	v_pk_add_f32 v[98:99], v[78:79], v[76:77] neg_lo:[0,1] neg_hi:[0,1]
	v_pk_add_f32 v[100:101], v[74:75], v[90:91] neg_lo:[0,1] neg_hi:[0,1]
	v_mov_b32_e32 v71, v20
	v_pk_add_f32 v[98:99], v[98:99], v[100:101]
	v_pk_add_f32 v[100:101], v[76:77], v[90:91]
	v_pk_add_f32 v[144:145], v[74:75], v[78:79] neg_lo:[0,1] neg_hi:[0,1]
	v_pk_fma_f32 v[100:101], v[100:101], 0.5, v[70:71] op_sel_hi:[1,0,1] neg_lo:[1,0,0] neg_hi:[1,0,0]
	v_pk_mul_f32 v[102:103], v[144:145], s[2:3] op_sel_hi:[1,0]
	s_mov_b32 s12, s1
	v_pk_add_f32 v[90:91], v[90:91], v[76:77] neg_lo:[0,1] neg_hi:[0,1]
	v_pk_add_f32 v[104:105], v[102:103], v[100:101] op_sel:[1,0] op_sel_hi:[0,1]
	v_pk_add_f32 v[100:101], v[100:101], v[102:103] op_sel:[0,1] op_sel_hi:[1,0] neg_lo:[0,1] neg_hi:[0,1]
	v_pk_mul_f32 v[102:103], v[90:91], s[12:13] op_sel_hi:[1,0]
	v_add_f32_e32 v0, v22, v72
	v_pk_add_f32 v[104:105], v[104:105], v[102:103] op_sel:[0,1] op_sel_hi:[1,0] neg_lo:[0,1] neg_hi:[0,1]
	v_pk_add_f32 v[100:101], v[102:103], v[100:101] op_sel:[1,0] op_sel_hi:[0,1]
	v_pk_fma_f32 v[114:115], v[98:99], s[0:1], v[104:105] op_sel_hi:[1,0,1]
	v_pk_fma_f32 v[120:121], v[98:99], s[0:1], v[100:101] op_sel_hi:[1,0,1]
	v_pk_add_f32 v[98:99], v[76:77], v[78:79] neg_lo:[0,1] neg_hi:[0,1]
	v_pk_add_f32 v[100:101], v[68:69], v[74:75] neg_lo:[0,1] neg_hi:[0,1]
	v_mov_b32_e32 v99, v98
	v_mov_b32_e32 v98, v88
	;; [unrolled: 1-line block ×4, first 2 shown]
	v_pk_add_f32 v[160:161], v[98:99], v[88:89]
	v_pk_add_f32 v[88:89], v[78:79], v[74:75]
	v_add_f32_e32 v16, v23, v33
	v_pk_fma_f32 v[88:89], v[88:89], 0.5, v[70:71] op_sel_hi:[1,0,1] neg_lo:[1,0,0] neg_hi:[1,0,0]
	v_sub_f32_e32 v129, v83, v66
	v_pk_fma_f32 v[146:147], v[90:91], s[2:3], v[88:89] op_sel:[0,0,1] op_sel_hi:[1,0,0]
	v_pk_fma_f32 v[136:137], v[90:91], s[2:3], v[88:89] op_sel:[0,0,1] op_sel_hi:[1,0,0] neg_lo:[1,0,0] neg_hi:[1,0,0]
	v_mov_b32_e32 v88, v33
	v_mov_b32_e32 v89, v69
	v_mul_f32_e32 v91, 0.5, v0
	v_mov_b32_e32 v90, v23
	v_pk_add_f32 v[162:163], v[88:89], v[90:91] neg_lo:[0,1] neg_hi:[0,1]
	v_pk_add_f32 v[88:89], v[20:21], v[66:67] neg_lo:[0,1] neg_hi:[0,1]
	v_pk_mul_f32 v[90:91], v[162:163], s[12:13]
	v_mov_b32_e32 v123, v89
	v_fmamk_f32 v148, v89, 0xbf737871, v163
	v_mul_f32_e32 v0, 0x3f737871, v89
	v_mul_f32_e32 v89, 0.5, v16
	v_mov_b32_e32 v88, v22
	v_pk_add_f32 v[104:105], v[72:73], v[88:89] neg_lo:[0,1] neg_hi:[0,1]
	v_add_f32_e32 v16, v13, v19
	v_pk_mul_f32 v[88:89], v[104:105], s[12:13]
	v_mov_b32_e32 v149, v90
	v_mov_b32_e32 v131, v88
	v_mul_f32_e32 v89, 0.5, v16
	v_mov_b32_e32 v88, v12
	v_pk_add_f32 v[88:89], v[46:47], v[88:89] neg_lo:[0,1] neg_hi:[0,1]
	v_mul_f32_e32 v151, 0x3f737871, v129
	v_mov_b32_e32 v150, 0x3f167918
	v_fmamk_f32 v130, v129, 0xbf737871, v105
	v_pk_mul_f32 v[90:91], v[88:89], s[12:13]
	v_add_f32_e32 v16, v11, v17
	v_pk_add_f32 v[132:133], v[104:105], v[150:151]
	v_pk_fma_f32 v[126:127], v[104:105], v[150:151], v[130:131]
	v_sub_f32_e32 v105, v63, v54
	v_mov_b32_e32 v109, v90
	v_mul_f32_e32 v91, 0.5, v16
	v_mov_b32_e32 v90, v10
	v_mul_f32_e32 v151, 0x3f737871, v105
	v_fmamk_f32 v108, v105, 0xbf737871, v89
	v_pk_add_f32 v[98:99], v[24:25], v[90:91] neg_lo:[0,1] neg_hi:[0,1]
	v_pk_add_f32 v[110:111], v[88:89], v[150:151]
	v_pk_fma_f32 v[106:107], v[88:89], v[150:151], v[108:109]
	v_sub_f32_e32 v89, v1, v30
	v_pk_mul_f32 v[90:91], v[98:99], s[12:13]
	v_mul_f32_e32 v151, 0x3f737871, v89
	v_mov_b32_e32 v101, v90
	v_fmamk_f32 v100, v89, 0xbf737871, v99
	v_pk_add_f32 v[102:103], v[98:99], v[150:151]
	v_pk_fma_f32 v[90:91], v[98:99], v[150:151], v[100:101]
	v_mov_b32_e32 v151, v0
	v_pk_add_f32 v[164:165], v[162:163], v[150:151]
	v_pk_add_f32 v[124:125], v[82:83], v[124:125] neg_lo:[0,1] neg_hi:[0,1]
	v_pk_add_f32 v[164:165], v[164:165], v[148:149] neg_lo:[0,1] neg_hi:[0,1]
	v_pk_fma_f32 v[148:149], v[162:163], v[150:151], v[148:149]
	v_add_f32_e32 v0, v124, v125
	v_mov_b32_e32 v149, v165
	v_mul_f32_e32 v0, 0x3e9e377a, v0
	v_pk_add_f32 v[164:165], v[0:1], v[148:149] op_sel_hi:[0,1]
	v_pk_mul_f32 v[148:149], v[160:161], s[0:1] op_sel_hi:[1,0]
	v_pk_fma_f32 v[166:167], v[144:145], s[12:13], v[136:137] op_sel_hi:[1,0,1] neg_lo:[1,0,0] neg_hi:[1,0,0]
	v_pk_add_f32 v[136:137], v[32:33], v[72:73]
	v_add_f32_e32 v0, v66, v83
	v_mov_b32_e32 v124, v21
	v_mov_b32_e32 v125, v148
	;; [unrolled: 1-line block ×4, first 2 shown]
	v_mul_f32_e32 v71, 0.5, v0
	v_pk_add_f32 v[124:125], v[124:125], v[136:137]
	v_pk_add_f32 v[136:137], v[22:23], v[66:67] neg_lo:[0,1] neg_hi:[0,1]
	v_pk_add_f32 v[168:169], v[68:69], v[70:71]
	v_pk_add_f32 v[170:171], v[68:69], v[70:71] neg_lo:[0,1] neg_hi:[0,1]
	v_pk_mul_f32 v[172:173], v[122:123], s[0:1]
	v_mov_b32_e32 v123, 0x3e9e377a
	v_mov_b32_e32 v122, v35
	;; [unrolled: 1-line block ×3, first 2 shown]
	v_mul_f32_e32 v75, 0x3f737871, v162
	v_mov_b32_e32 v169, v171
	v_pk_add_f32 v[70:71], v[122:123], v[60:61]
	v_mov_b32_e32 v122, v57
	v_pk_add_f32 v[168:169], v[74:75], v[168:169]
	v_pk_add_f32 v[74:75], v[122:123], v[80:81]
	v_mov_b32_e32 v122, v79
	v_mov_b32_e32 v79, v173
	v_pk_add_f32 v[78:79], v[78:79], v[168:169]
	v_mov_b32_e32 v82, v77
	v_mov_b32_e32 v77, v172
	v_pk_add_f32 v[76:77], v[76:77], v[78:79]
	v_pk_mul_f32 v[78:79], v[144:145], s[12:13] op_sel_hi:[1,0]
	v_mov_b32_e32 v71, v73
	v_mov_b32_e32 v73, v79
	v_pk_fma_f32 v[78:79], v[144:145], s[12:13], v[146:147] op_sel_hi:[1,0,1]
	v_mov_b32_e32 v146, v69
	v_pk_add_f32 v[68:69], v[72:73], v[146:147]
	v_mov_b32_e32 v148, v83
	v_mov_b32_e32 v145, 0x3f4f1bbd
	;; [unrolled: 1-line block ×3, first 2 shown]
	v_pk_add_f32 v[146:147], v[148:149], v[68:69]
	v_pk_add_f32 v[68:69], v[144:145], v[64:65]
	v_mov_b32_e32 v144, v55
	v_pk_add_f32 v[72:73], v[144:145], v[84:85]
	v_mov_b32_e32 v144, v67
	v_add_f32_e32 v18, v67, v21
	v_mov_b32_e32 v148, v67
	v_mov_b32_e32 v67, v145
	v_pk_add_f32 v[168:169], v[66:67], v[146:147]
	v_pk_mul_f32 v[66:67], v[66:67], v[146:147]
	s_mov_b32 s14, s0
	v_mov_b32_e32 v169, v67
	v_mul_f32_e32 v67, 0x3f167918, v125
	v_mov_b32_e32 v66, v22
	s_mov_b32 s15, s2
	v_pk_add_f32 v[66:67], v[66:67], v[168:169]
	v_pk_mul_f32 v[168:169], v[114:115], s[14:15]
	v_mov_b32_e32 v79, v167
	v_pk_fma_f32 v[174:175], v[120:121], s[14:15], v[168:169] op_sel:[0,0,1] op_sel_hi:[1,1,0]
	v_pk_add_f32 v[178:179], v[76:77], v[66:67]
	v_pk_fma_f32 v[78:79], v[160:161], s[0:1], v[78:79] op_sel_hi:[1,0,1]
	v_mov_b32_e32 v161, v174
	v_mov_b32_e32 v160, v67
	v_pk_add_f32 v[66:67], v[66:67], v[76:77] neg_lo:[0,1] neg_hi:[0,1]
	v_mov_b32_e32 v76, v77
	v_mov_b32_e32 v77, v164
	s_mov_b32 s9, 0x3f4f1bbd
	s_mov_b32 s8, s1
	v_fmac_f32_e32 v171, 0xbf737871, v162
	v_pk_add_f32 v[76:77], v[76:77], v[160:161] neg_lo:[0,1] neg_hi:[0,1]
	v_pk_mul_f32 v[160:161], v[78:79], s[8:9]
	v_sub_f32_e32 v0, v171, v173
	v_mov_b32_e32 v16, v161
	v_add_f32_e32 v0, v172, v0
	v_pk_fma_f32 v[160:161], v[78:79], s[8:9], v[16:17] neg_lo:[0,0,1] neg_hi:[0,0,1]
	v_mad_u32_u24 v75, v158, 40, 0
	v_pk_add_f32 v[162:163], v[0:1], v[160:161]
	v_mov_b32_e32 v62, v54
	v_mov_b32_e32 v163, v66
	ds_write2_b64 v75, v[162:163], v[76:77] offset0:2 offset1:3
	v_mov_b32_e32 v162, v12
	v_mov_b32_e32 v163, v46
	v_pk_add_f32 v[66:67], v[162:163], v[62:63] neg_lo:[0,1] neg_hi:[0,1]
	v_pk_add_f32 v[76:77], v[58:59], v[156:157] neg_lo:[0,1] neg_hi:[0,1]
	v_mov_b32_e32 v16, v67
	v_pk_add_f32 v[166:167], v[66:67], v[16:17]
	v_pk_add_f32 v[66:67], v[56:57], v[48:49] neg_lo:[0,1] neg_hi:[0,1]
	v_mov_b32_e32 v91, v47
	v_pk_add_f32 v[76:77], v[66:67], v[76:77]
	v_pk_add_f32 v[66:67], v[48:49], v[156:157]
	v_mul_f32_e32 v47, 0x3f167918, v155
	v_pk_fma_f32 v[66:67], v[66:67], 0.5, v[50:51] op_sel_hi:[1,0,1] neg_lo:[1,0,0] neg_hi:[1,0,0]
	v_pk_mul_f32 v[154:155], v[154:155], s[2:3] op_sel_hi:[1,0]
	v_pk_fma_f32 v[168:169], v[120:121], s[14:15], v[168:169] op_sel:[0,0,1] op_sel_hi:[1,1,0] neg_lo:[0,0,1] neg_hi:[0,0,1]
	v_pk_add_f32 v[156:157], v[154:155], v[66:67] op_sel:[1,0] op_sel_hi:[0,1]
	v_pk_add_f32 v[66:67], v[66:67], v[154:155] op_sel:[0,1] op_sel_hi:[1,0] neg_lo:[0,1] neg_hi:[0,1]
	v_pk_mul_f32 v[154:155], v[138:139], s[12:13] op_sel_hi:[1,0]
	v_mov_b32_e32 v152, v63
	v_pk_add_f32 v[156:157], v[156:157], v[154:155] op_sel:[0,1] op_sel_hi:[1,0] neg_lo:[0,1] neg_hi:[0,1]
	v_pk_add_f32 v[154:155], v[154:155], v[66:67] op_sel:[1,0] op_sel_hi:[0,1]
	v_pk_fma_f32 v[66:67], v[76:77], s[0:1], v[156:157] op_sel_hi:[1,0,1]
	v_pk_fma_f32 v[76:77], v[76:77], s[0:1], v[154:155] op_sel_hi:[1,0,1]
	v_mov_b32_e32 v154, v165
	v_mov_b32_e32 v155, v0
	;; [unrolled: 1-line block ×4, first 2 shown]
	v_pk_add_f32 v[154:155], v[154:155], v[156:157] neg_lo:[0,1] neg_hi:[0,1]
	v_add_f32_e32 v0, v12, v46
	ds_write_b64 v75, v[154:155] offset:32
	v_mov_b32_e32 v154, v19
	v_mov_b32_e32 v155, v53
	v_mul_f32_e32 v157, 0.5, v0
	v_mov_b32_e32 v156, v13
	v_pk_add_f32 v[154:155], v[154:155], v[156:157] neg_lo:[0,1] neg_hi:[0,1]
	v_pk_add_f32 v[156:157], v[14:15], v[54:55] neg_lo:[0,1] neg_hi:[0,1]
	v_pk_mul_f32 v[160:161], v[154:155], s[12:13]
	v_mul_f32_e32 v151, 0x3f737871, v157
	v_mov_b32_e32 v167, v157
	v_mov_b32_e32 v161, v160
	v_fmamk_f32 v160, v157, 0xbf737871, v155
	v_pk_add_f32 v[156:157], v[154:155], v[150:151]
	v_mul_f32_e32 v59, 0x3f737871, v154
	v_pk_add_f32 v[156:157], v[156:157], v[160:161] neg_lo:[0,1] neg_hi:[0,1]
	v_pk_fma_f32 v[160:161], v[154:155], v[150:151], v[160:161]
	v_mov_b32_e32 v14, v49
	v_mov_b32_e32 v161, v157
	v_pk_add_f32 v[156:157], v[62:63], v[162:163] neg_lo:[0,1] neg_hi:[0,1]
	v_add_f32_e32 v146, v55, v15
	v_add_f32_e32 v0, v156, v157
	v_mul_f32_e32 v0, 0x3e9e377a, v0
	v_pk_add_f32 v[156:157], v[0:1], v[160:161] op_sel_hi:[0,1]
	v_add_f32_e32 v0, v54, v63
	v_mul_f32_e32 v51, 0.5, v0
	v_pk_add_f32 v[160:161], v[52:53], v[50:51]
	v_pk_add_f32 v[162:163], v[52:53], v[50:51] neg_lo:[0,1] neg_hi:[0,1]
	v_mov_b32_e32 v175, v169
	v_mov_b32_e32 v161, v163
	v_pk_add_f32 v[50:51], v[58:59], v[160:161]
	v_pk_mul_f32 v[58:59], v[166:167], s[0:1]
	v_pk_add_f32 v[176:177], v[164:165], v[174:175]
	v_mov_b32_e32 v57, v59
	v_pk_add_f32 v[50:51], v[56:57], v[50:51]
	v_mov_b32_e32 v49, v58
	;; [unrolled: 2-line block ×3, first 2 shown]
	v_fmamk_f32 v49, v139, 0x3f737871, v140
	v_pk_add_f32 v[48:49], v[46:47], v[48:49]
	v_mov_b32_e32 v46, v55
	v_pk_add_f32 v[48:49], v[152:153], v[48:49]
	v_mov_b32_e32 v55, v145
	v_pk_add_f32 v[50:51], v[54:55], v[48:49]
	v_pk_mul_f32 v[52:53], v[54:55], v[48:49]
	v_mad_i32_i24 v69, v159, 40, 0
	v_mov_b32_e32 v51, v53
	v_mul_f32_e32 v53, 0x3f167918, v85
	v_mov_b32_e32 v52, v12
	v_pk_add_f32 v[52:53], v[52:53], v[50:51]
	v_pk_mul_f32 v[50:51], v[66:67], s[14:15]
	v_pk_add_f32 v[152:153], v[56:57], v[52:53]
	v_pk_fma_f32 v[54:55], v[76:77], s[14:15], v[50:51] op_sel:[0,0,1] op_sel_hi:[1,1,0]
	v_pk_fma_f32 v[62:63], v[76:77], s[14:15], v[50:51] op_sel:[0,0,1] op_sel_hi:[1,1,0] neg_lo:[0,0,1] neg_hi:[0,0,1]
	ds_write2_b64 v75, v[178:179], v[176:177] offset1:1
	v_mov_b32_e32 v55, v63
	v_pk_add_f32 v[50:51], v[156:157], v[54:55]
	ds_write2_b64 v69, v[152:153], v[50:51] offset1:1
	v_mul_f32_e32 v50, 0x3f737871, v139
	v_pk_mul_f32 v[138:139], v[142:143], s[2:3]
	v_fmac_f32_e32 v163, 0xbf737871, v154
	v_mov_b32_e32 v51, v138
	v_pk_add_f32 v[50:51], v[140:141], v[50:51] neg_lo:[0,1] neg_hi:[0,1]
	v_pk_add_f32 v[140:141], v[140:141], v[138:139] op_sel:[0,1] op_sel_hi:[1,0]
	v_mov_b32_e32 v51, v47
	v_mov_b32_e32 v140, v141
	v_mov_b32_e32 v141, v50
	v_mov_b32_e32 v50, v139
	v_pk_add_f32 v[138:139], v[140:141], v[138:139] op_sel:[0,1] op_sel_hi:[1,0]
	v_pk_add_f32 v[50:51], v[140:141], v[50:51] neg_lo:[0,1] neg_hi:[0,1]
	v_mov_b32_e32 v55, v54
	v_mov_b32_e32 v139, v51
	v_pk_fma_f32 v[50:51], v[134:135], s[0:1], v[138:139] op_sel_hi:[1,0,1]
	v_mov_b32_e32 v54, v53
	v_pk_add_f32 v[52:53], v[52:53], v[56:57] neg_lo:[0,1] neg_hi:[0,1]
	v_mov_b32_e32 v56, v57
	v_mov_b32_e32 v57, v156
	v_pk_add_f32 v[54:55], v[56:57], v[54:55] neg_lo:[0,1] neg_hi:[0,1]
	v_sub_f32_e32 v0, v163, v59
	v_pk_mul_f32 v[56:57], v[50:51], s[8:9]
	v_add_f32_e32 v12, v58, v0
	v_mov_b32_e32 v0, v57
	v_pk_fma_f32 v[56:57], v[50:51], s[8:9], v[0:1] neg_lo:[0,0,1] neg_hi:[0,0,1]
	v_mov_b32_e32 v0, v30
	v_pk_add_f32 v[58:59], v[12:13], v[56:57]
	v_mov_b32_e32 v138, v25
	v_mov_b32_e32 v59, v52
	ds_write2_b64 v69, v[58:59], v[54:55] offset0:2 offset1:3
	v_mov_b32_e32 v58, v10
	v_mov_b32_e32 v59, v24
	v_pk_add_f32 v[52:53], v[58:59], v[0:1] neg_lo:[0,1] neg_hi:[0,1]
	v_pk_add_f32 v[54:55], v[44:45], v[118:119] neg_lo:[0,1] neg_hi:[0,1]
	v_mov_b32_e32 v16, v53
	v_pk_add_f32 v[134:135], v[52:53], v[16:17]
	v_pk_add_f32 v[52:53], v[34:35], v[42:43] neg_lo:[0,1] neg_hi:[0,1]
	v_mul_f32_e32 v25, 0x3f167918, v117
	v_pk_add_f32 v[54:55], v[52:53], v[54:55]
	v_pk_add_f32 v[52:53], v[42:43], v[118:119]
	v_pk_mul_f32 v[116:117], v[116:117], s[2:3] op_sel_hi:[1,0]
	v_pk_fma_f32 v[52:53], v[52:53], 0.5, v[28:29] op_sel_hi:[1,0,1] neg_lo:[1,0,0] neg_hi:[1,0,0]
	v_mov_b32_e32 v62, v63
	v_pk_add_f32 v[118:119], v[116:117], v[52:53] op_sel:[1,0] op_sel_hi:[0,1]
	v_pk_add_f32 v[52:53], v[52:53], v[116:117] op_sel:[0,1] op_sel_hi:[1,0] neg_lo:[0,1] neg_hi:[0,1]
	v_pk_mul_f32 v[116:117], v[92:93], s[12:13] op_sel_hi:[1,0]
	v_mov_b32_e32 v63, v56
	v_pk_add_f32 v[118:119], v[118:119], v[116:117] op_sel:[0,1] op_sel_hi:[1,0] neg_lo:[0,1] neg_hi:[0,1]
	v_pk_add_f32 v[116:117], v[116:117], v[52:53] op_sel:[1,0] op_sel_hi:[0,1]
	v_pk_fma_f32 v[52:53], v[54:55], s[0:1], v[118:119] op_sel_hi:[1,0,1]
	v_pk_fma_f32 v[54:55], v[54:55], s[0:1], v[116:117] op_sel_hi:[1,0,1]
	v_mov_b32_e32 v116, v157
	v_mov_b32_e32 v117, v12
	v_pk_add_f32 v[56:57], v[116:117], v[62:63] neg_lo:[0,1] neg_hi:[0,1]
	v_add_f32_e32 v12, v10, v24
	ds_write_b64 v69, v[56:57] offset:32
	v_mov_b32_e32 v56, v17
	v_mov_b32_e32 v57, v27
	v_mul_f32_e32 v63, 0.5, v12
	v_mov_b32_e32 v62, v11
	v_pk_add_f32 v[62:63], v[56:57], v[62:63] neg_lo:[0,1] neg_hi:[0,1]
	v_pk_add_f32 v[56:57], v[8:9], v[30:31] neg_lo:[0,1] neg_hi:[0,1]
	v_pk_mul_f32 v[116:117], v[62:63], s[12:13]
	v_mul_f32_e32 v151, 0x3f737871, v57
	v_mov_b32_e32 v135, v57
	v_mov_b32_e32 v117, v116
	v_fmamk_f32 v116, v57, 0xbf737871, v63
	v_pk_add_f32 v[56:57], v[62:63], v[150:151]
	v_pk_fma_f32 v[118:119], v[62:63], v[150:151], v[116:117]
	v_pk_add_f32 v[56:57], v[56:57], v[116:117] neg_lo:[0,1] neg_hi:[0,1]
	v_mul_f32_e32 v45, 0x3f737871, v62
	v_mov_b32_e32 v119, v57
	v_pk_add_f32 v[56:57], v[0:1], v[58:59] neg_lo:[0,1] neg_hi:[0,1]
	v_pk_mul_f32 v[116:117], v[134:135], s[0:1]
	v_add_f32_e32 v0, v56, v57
	v_mul_f32_e32 v0, 0x3e9e377a, v0
	v_pk_add_f32 v[58:59], v[0:1], v[118:119] op_sel_hi:[0,1]
	v_add_f32_e32 v0, v30, v1
	v_mul_f32_e32 v29, 0.5, v0
	v_pk_add_f32 v[56:57], v[26:27], v[28:29]
	v_pk_add_f32 v[28:29], v[26:27], v[28:29] neg_lo:[0,1] neg_hi:[0,1]
	v_mov_b32_e32 v112, v1
	v_mov_b32_e32 v57, v29
	;; [unrolled: 1-line block ×3, first 2 shown]
	v_fmamk_f32 v1, v93, 0x3f737871, v94
	v_pk_add_f32 v[44:45], v[44:45], v[56:57]
	v_mov_b32_e32 v35, v117
	v_pk_add_f32 v[0:1], v[24:25], v[0:1]
	v_pk_add_f32 v[34:35], v[34:35], v[44:45]
	v_pk_add_f32 v[44:45], v[112:113], v[0:1]
	v_add_f32_e32 v139, v31, v9
	v_mov_b32_e32 v12, v31
	v_mov_b32_e32 v31, v145
	v_pk_add_f32 v[0:1], v[30:31], v[44:45]
	v_pk_mul_f32 v[26:27], v[30:31], v[44:45]
	v_mov_b32_e32 v8, v43
	v_mov_b32_e32 v1, v27
	v_mul_f32_e32 v27, 0x3f167918, v65
	v_mov_b32_e32 v26, v10
	v_pk_add_f32 v[0:1], v[26:27], v[0:1]
	v_pk_mul_f32 v[26:27], v[52:53], s[14:15]
	v_mov_b32_e32 v43, v116
	v_pk_fma_f32 v[30:31], v[54:55], s[14:15], v[26:27] op_sel:[0,0,1] op_sel_hi:[1,1,0]
	v_pk_fma_f32 v[26:27], v[54:55], s[14:15], v[26:27] op_sel:[0,0,1] op_sel_hi:[1,1,0] neg_lo:[0,0,1] neg_hi:[0,0,1]
	v_pk_add_f32 v[34:35], v[42:43], v[34:35]
	v_mov_b32_e32 v31, v27
	v_mad_i32_i24 v73, v41, 40, 0
	v_pk_add_f32 v[42:43], v[58:59], v[30:31]
	v_pk_add_f32 v[56:57], v[34:35], v[0:1]
	ds_write2_b64 v73, v[56:57], v[42:43] offset1:1
	v_pk_mul_f32 v[56:57], v[96:97], s[2:3]
	v_mul_f32_e32 v42, 0x3f737871, v93
	v_mov_b32_e32 v43, v56
	v_pk_add_f32 v[42:43], v[94:95], v[42:43] neg_lo:[0,1] neg_hi:[0,1]
	v_pk_add_f32 v[92:93], v[94:95], v[56:57] op_sel:[0,1] op_sel_hi:[1,0]
	v_mov_b32_e32 v24, v57
	v_mov_b32_e32 v92, v93
	;; [unrolled: 1-line block ×3, first 2 shown]
	v_pk_add_f32 v[42:43], v[92:93], v[56:57] op_sel:[0,1] op_sel_hi:[1,0]
	v_pk_add_f32 v[24:25], v[92:93], v[24:25] neg_lo:[0,1] neg_hi:[0,1]
	v_fmac_f32_e32 v29, 0xbf737871, v62
	v_mov_b32_e32 v43, v25
	v_pk_fma_f32 v[56:57], v[86:87], s[0:1], v[42:43] op_sel_hi:[1,0,1]
	v_mov_b32_e32 v24, v1
	v_pk_add_f32 v[0:1], v[0:1], v[34:35] neg_lo:[0,1] neg_hi:[0,1]
	v_mov_b32_e32 v25, v30
	v_sub_f32_e32 v1, v29, v117
	v_pk_mul_f32 v[28:29], v[56:57], s[8:9]
	v_mov_b32_e32 v30, v35
	v_mov_b32_e32 v16, v29
	;; [unrolled: 1-line block ×3, first 2 shown]
	v_add_f32_e32 v10, v116, v1
	v_pk_fma_f32 v[28:29], v[56:57], s[8:9], v[16:17] neg_lo:[0,0,1] neg_hi:[0,0,1]
	v_pk_add_f32 v[24:25], v[30:31], v[24:25] neg_lo:[0,1] neg_hi:[0,1]
	v_pk_add_f32 v[30:31], v[10:11], v[28:29]
	v_mov_b32_e32 v149, v21
	v_mov_b32_e32 v31, v0
	ds_write2_b64 v73, v[30:31], v[24:25] offset0:2 offset1:3
	v_pk_add_f32 v[0:1], v[32:33], v[20:21]
	v_pk_add_f32 v[24:25], v[32:33], v[20:21] neg_lo:[0,1] neg_hi:[0,1]
	v_mov_b32_e32 v32, v23
	v_mov_b32_e32 v1, v25
	v_pk_add_f32 v[20:21], v[148:149], v[32:33] neg_lo:[0,1] neg_hi:[0,1]
	v_pk_add_f32 v[24:25], v[132:133], v[130:131] neg_lo:[0,1] neg_hi:[0,1]
	v_pk_add_f32 v[0:1], v[136:137], v[0:1]
	s_mov_b32 s19, s0
	v_mov_b32_e32 v128, v104
	v_mov_b32_e32 v127, v25
	v_pk_add_f32 v[24:25], v[122:123], v[0:1]
	v_pk_mul_f32 v[122:123], v[0:1], s[18:19]
	v_add_f32_e32 v0, v20, v21
	v_fmac_f32_e32 v71, -0.5, v18
	v_pk_mul_f32 v[128:129], v[128:129], s[2:3]
	v_mul_f32_e32 v0, 0x3e9e377a, v0
	s_mov_b32 s20, s2
	s_mov_b32 s21, s0
	v_sub_f32_e32 v16, v71, v128
	v_pk_add_f32 v[126:127], v[0:1], v[126:127] op_sel_hi:[0,1]
	s_mov_b32 s12, 0xbf737871
	s_mov_b32 s13, s0
	v_pk_mul_f32 v[0:1], v[120:121], s[20:21]
	v_add_f32_e32 v47, v128, v71
	v_sub_f32_e32 v83, v16, v129
	v_pk_fma_f32 v[120:121], v[114:115], s[12:13], v[0:1] op_sel:[0,0,1] op_sel_hi:[1,1,0] neg_lo:[0,0,1] neg_hi:[0,0,1]
	v_mul_f32_e32 v1, 0x3f167918, v147
	v_mov_b32_e32 v0, v23
	v_mov_b32_e32 v16, v23
	v_pk_add_f32 v[20:21], v[144:145], v[124:125]
	v_add_f32_e32 v47, v129, v47
	v_mov_b32_e32 v25, v123
	v_pk_add_f32 v[132:133], v[20:21], v[16:17] op_sel_hi:[1,0]
	v_pk_fma_f32 v[124:125], v[124:125], s[8:9], v[0:1] neg_lo:[0,0,1] neg_hi:[0,0,1]
	v_mov_b32_e32 v0, v59
	v_mov_b32_e32 v1, v10
	;; [unrolled: 1-line block ×4, first 2 shown]
	s_load_dwordx2 s[14:15], s[6:7], 0x0
	v_add_f32_e32 v122, v123, v47
	s_mov_b32 s7, 0xbf167918
	v_mul_f32_e32 v47, 0x3f4f1bbd, v78
	v_pk_add_f32 v[130:131], v[82:83], v[24:25]
	v_pk_add_f32 v[0:1], v[0:1], v[20:21] neg_lo:[0,1] neg_hi:[0,1]
	v_fma_f32 v78, v79, s7, -v47
	ds_write_b64 v73, v[0:1] offset:32
	v_pk_add_f32 v[0:1], v[126:127], v[120:121]
	s_movk_i32 s6, 0xffdc
	v_mov_b32_e32 v133, v125
	v_mov_b32_e32 v123, v132
	;; [unrolled: 1-line block ×9, first 2 shown]
	v_mad_i32_i24 v82, v158, s6, v75
	v_mad_i32_i24 v114, v41, s6, v73
	v_lshl_add_u32 v115, v6, 2, 0
	v_lshl_add_u32 v118, v3, 2, 0
	v_pk_add_f32 v[136:137], v[130:131], v[132:133]
	v_pk_add_f32 v[124:125], v[128:129], v[124:125] neg_lo:[0,1] neg_hi:[0,1]
	v_pk_add_f32 v[128:129], v[122:123], v[78:79]
	v_pk_add_f32 v[130:131], v[122:123], v[78:79] neg_lo:[0,1] neg_hi:[0,1]
	v_pk_add_f32 v[78:79], v[126:127], v[120:121] neg_lo:[0,1] neg_hi:[0,1]
	v_mov_b32_e32 v134, v1
	v_mov_b32_e32 v135, v0
	s_waitcnt lgkmcnt(0)
	s_barrier
	v_mad_i32_i24 v113, v159, s6, v69
	v_lshl_add_u32 v83, v40, 2, 0
	v_lshl_add_u32 v117, v7, 2, 0
	;; [unrolled: 1-line block ×5, first 2 shown]
	v_add_u32_e32 v96, 0xe00, v82
	v_add_u32_e32 v97, 0x1e00, v82
	;; [unrolled: 1-line block ×6, first 2 shown]
	ds_read_b32 v58, v115
	ds_read_b32 v48, v117
	;; [unrolled: 1-line block ×5, first 2 shown]
	v_add_u32_e32 v99, 0x1800, v82
	v_add_u32_e32 v112, 0x2800, v82
	ds_read_b32 v18, v118
	ds_read_b32 v16, v119
	v_add_u32_e32 v94, 0x1c00, v82
	v_add_u32_e32 v100, 0x2a00, v82
	ds_read_b32 v62, v114
	ds_read_b32 v63, v113
	;; [unrolled: 1-line block ×3, first 2 shown]
	ds_read2_b32 v[42:43], v96 offset0:104 offset1:204
	ds_read2_b32 v[34:35], v97 offset0:80 offset1:180
	;; [unrolled: 1-line block ×10, first 2 shown]
	s_waitcnt lgkmcnt(0)
	s_barrier
	ds_write_b64 v75, v[78:79] offset:32
	v_mov_b32_e32 v47, v15
	v_mov_b32_e32 v79, v19
	v_mov_b32_e32 v78, v13
	v_pk_add_f32 v[46:47], v[46:47], v[78:79] neg_lo:[0,1] neg_hi:[0,1]
	v_mov_b32_e32 v104, v88
	v_pk_add_f32 v[78:79], v[110:111], v[108:109] neg_lo:[0,1] neg_hi:[0,1]
	v_fmac_f32_e32 v91, -0.5, v146
	v_mov_b32_e32 v107, v79
	v_pk_mul_f32 v[78:79], v[104:105], s[2:3]
	v_mov_b32_e32 v129, v131
	v_sub_f32_e32 v15, v91, v78
	v_pk_mul_f32 v[80:81], v[80:81], s[18:19]
	ds_write2_b64 v75, v[136:137], v[134:135] offset1:1
	ds_write2_b64 v75, v[128:129], v[124:125] offset0:2 offset1:3
	v_sub_f32_e32 v15, v15, v79
	v_mov_b32_e32 v75, v81
	v_pk_add_f32 v[14:15], v[14:15], v[74:75]
	v_add_f32_e32 v19, v46, v47
	v_pk_mul_f32 v[74:75], v[76:77], s[20:21]
	v_mul_f32_e32 v46, 0x3e9e377a, v19
	v_pk_fma_f32 v[66:67], v[66:67], s[12:13], v[74:75] op_sel:[0,0,1] op_sel_hi:[1,1,0] neg_lo:[0,0,1] neg_hi:[0,0,1]
	v_mul_f32_e32 v75, 0x3f167918, v49
	v_mov_b32_e32 v74, v13
	v_mov_b32_e32 v76, v13
	v_add_f32_e32 v13, v78, v91
	v_pk_add_f32 v[46:47], v[46:47], v[106:107] op_sel_hi:[0,1]
	v_pk_add_f32 v[76:77], v[72:73], v[76:77] op_sel_hi:[1,0]
	v_pk_fma_f32 v[74:75], v[84:85], s[8:9], v[74:75] neg_lo:[0,0,1] neg_hi:[0,0,1]
	v_add_f32_e32 v13, v79, v13
	v_pk_add_f32 v[84:85], v[46:47], v[66:67]
	v_mov_b32_e32 v77, v75
	v_add_f32_e32 v78, v81, v13
	v_mul_f32_e32 v13, 0x3f4f1bbd, v50
	v_mov_b32_e32 v104, v85
	v_mov_b32_e32 v105, v84
	v_pk_add_f32 v[84:85], v[14:15], v[76:77]
	v_mov_b32_e32 v79, v76
	v_fma_f32 v50, v51, s7, -v13
	v_mov_b32_e32 v51, v14
	v_mov_b32_e32 v14, v15
	;; [unrolled: 1-line block ×5, first 2 shown]
	v_pk_add_f32 v[14:15], v[14:15], v[74:75] neg_lo:[0,1] neg_hi:[0,1]
	v_pk_add_f32 v[74:75], v[78:79], v[50:51]
	v_pk_add_f32 v[76:77], v[78:79], v[50:51] neg_lo:[0,1] neg_hi:[0,1]
	v_mov_b32_e32 v13, v9
	v_mov_b32_e32 v75, v77
	ds_write2_b64 v69, v[74:75], v[14:15] offset0:2 offset1:3
	v_mov_b32_e32 v15, v17
	v_mov_b32_e32 v14, v11
	v_pk_add_f32 v[12:13], v[12:13], v[14:15] neg_lo:[0,1] neg_hi:[0,1]
	v_mov_b32_e32 v88, v98
	v_pk_add_f32 v[14:15], v[102:103], v[100:101] neg_lo:[0,1] neg_hi:[0,1]
	v_fmac_f32_e32 v138, -0.5, v139
	v_mov_b32_e32 v91, v15
	v_pk_mul_f32 v[14:15], v[88:89], s[2:3]
	v_pk_mul_f32 v[60:61], v[60:61], s[18:19]
	v_sub_f32_e32 v9, v138, v14
	v_add_f32_e32 v12, v12, v13
	v_pk_mul_f32 v[54:55], v[54:55], s[20:21]
	v_sub_f32_e32 v9, v9, v15
	v_mov_b32_e32 v71, v61
	v_mul_f32_e32 v12, 0x3e9e377a, v12
	v_pk_fma_f32 v[52:53], v[52:53], s[12:13], v[54:55] op_sel:[0,0,1] op_sel_hi:[1,1,0] neg_lo:[0,0,1] neg_hi:[0,0,1]
	v_mul_f32_e32 v55, 0x3f167918, v45
	v_mov_b32_e32 v54, v11
	v_mov_b32_e32 v60, v11
	;; [unrolled: 1-line block ×4, first 2 shown]
	v_pk_add_f32 v[8:9], v[8:9], v[70:71]
	v_pk_add_f32 v[12:13], v[12:13], v[90:91] op_sel_hi:[0,1]
	v_pk_add_f32 v[70:71], v[68:69], v[60:61] op_sel_hi:[1,0]
	v_pk_fma_f32 v[54:55], v[64:65], s[8:9], v[54:55] neg_lo:[0,0,1] neg_hi:[0,0,1]
	v_pk_add_f32 v[46:47], v[46:47], v[66:67] neg_lo:[0,1] neg_hi:[0,1]
	v_add_f32_e32 v11, v14, v138
	ds_write_b64 v69, v[46:47] offset:32
	v_pk_add_f32 v[46:47], v[12:13], v[52:53]
	v_mov_b32_e32 v71, v55
	v_add_f32_e32 v11, v15, v11
	v_mov_b32_e32 v50, v47
	v_mov_b32_e32 v51, v46
	v_pk_add_f32 v[46:47], v[8:9], v[70:71]
	v_add_f32_e32 v14, v61, v11
	v_mul_f32_e32 v11, 0x3f4f1bbd, v56
	ds_write2_b64 v69, v[84:85], v[104:105] offset1:1
	ds_write2_b64 v73, v[46:47], v[50:51] offset1:1
	v_fma_f32 v46, v57, s7, -v11
	v_mov_b32_e32 v15, v70
	v_mov_b32_e32 v47, v8
	;; [unrolled: 1-line block ×6, first 2 shown]
	v_pk_add_f32 v[50:51], v[14:15], v[46:47]
	v_pk_add_f32 v[8:9], v[8:9], v[54:55] neg_lo:[0,1] neg_hi:[0,1]
	v_pk_add_f32 v[54:55], v[14:15], v[46:47] neg_lo:[0,1] neg_hi:[0,1]
	v_mov_b32_e32 v13, v14
	v_mov_b32_e32 v51, v55
	;; [unrolled: 1-line block ×3, first 2 shown]
	ds_write2_b64 v73, v[50:51], v[8:9] offset0:2 offset1:3
	v_pk_add_f32 v[8:9], v[12:13], v[52:53] neg_lo:[0,1] neg_hi:[0,1]
	s_movk_i32 s3, 0xcd
	ds_write_b64 v73, v[8:9] offset:32
	v_mul_lo_u16_sdwa v8, v158, s3 dst_sel:DWORD dst_unused:UNUSED_PAD src0_sel:BYTE_0 src1_sel:DWORD
	v_lshrrev_b16_e32 v11, 11, v8
	v_mul_lo_u16_e32 v8, 10, v11
	v_sub_u16_e32 v12, v158, v8
	v_mov_b32_e32 v13, 4
	v_lshlrev_b32_sdwa v8, v13, v12 dst_sel:DWORD dst_unused:UNUSED_PAD src0_sel:DWORD src1_sel:BYTE_0
	s_waitcnt lgkmcnt(0)
	s_barrier
	global_load_dwordx4 v[50:53], v8, s[4:5]
	v_mul_lo_u16_sdwa v8, v159, s3 dst_sel:DWORD dst_unused:UNUSED_PAD src0_sel:BYTE_0 src1_sel:DWORD
	v_lshrrev_b16_e32 v8, 11, v8
	v_mul_lo_u16_e32 v9, 10, v8
	v_sub_u16_e32 v9, v159, v9
	v_lshlrev_b32_sdwa v13, v13, v9 dst_sel:DWORD dst_unused:UNUSED_PAD src0_sel:DWORD src1_sel:BYTE_0
	s_mov_b32 s3, 0xcccd
	global_load_dwordx4 v[54:57], v13, s[4:5]
	v_mul_u32_u24_sdwa v13, v41, s3 dst_sel:DWORD dst_unused:UNUSED_PAD src0_sel:WORD_0 src1_sel:DWORD
	v_lshrrev_b32_e32 v14, 19, v13
	v_mul_lo_u16_e32 v13, 10, v14
	v_sub_u16_e32 v13, v41, v13
	v_lshlrev_b32_e32 v15, 4, v13
	global_load_dwordx4 v[64:67], v15, s[4:5]
	v_mul_u32_u24_sdwa v15, v40, s3 dst_sel:DWORD dst_unused:UNUSED_PAD src0_sel:WORD_0 src1_sel:DWORD
	v_lshrrev_b32_e32 v15, 19, v15
	v_mul_lo_u16_e32 v17, 10, v15
	v_sub_u16_e32 v17, v40, v17
	v_lshlrev_b32_e32 v19, 4, v17
	;; [unrolled: 6-line block ×8, first 2 shown]
	global_load_dwordx4 v[2:5], v2, s[4:5]
	ds_read2_b32 v[6:7], v96 offset0:104 offset1:204
	ds_read2_b32 v[46:47], v97 offset0:80 offset1:180
	v_mul_u32_u24_e32 v8, 0x78, v8
	s_mov_b32 s3, 0x5040100
	s_movk_i32 s6, 0x78
	v_lshlrev_b32_e32 v13, 2, v13
	s_waitcnt vmcnt(9) lgkmcnt(1)
	v_mul_f32_e32 v84, v6, v51
	v_fma_f32 v84, v42, v50, -v84
	v_mul_f32_e32 v42, v42, v51
	v_fmac_f32_e32 v42, v6, v50
	s_waitcnt lgkmcnt(0)
	v_mul_f32_e32 v6, v46, v53
	v_fma_f32 v50, v34, v52, -v6
	v_mul_f32_e32 v51, v34, v53
	s_waitcnt vmcnt(8)
	v_mul_f32_e32 v6, v7, v55
	v_mul_f32_e32 v106, v43, v55
	v_fma_f32 v101, v43, v54, -v6
	v_fmac_f32_e32 v106, v7, v54
	ds_read2_b32 v[6:7], v92 offset0:48 offset1:148
	v_mul_f32_e32 v34, v47, v57
	v_fma_f32 v107, v35, v56, -v34
	v_mul_f32_e32 v109, v35, v57
	ds_read2_b32 v[34:35], v95 offset0:152 offset1:252
	s_waitcnt vmcnt(7) lgkmcnt(1)
	v_mul_f32_e32 v43, v6, v65
	v_fma_f32 v110, v32, v64, -v43
	v_mul_f32_e32 v32, v32, v65
	v_fmac_f32_e32 v32, v6, v64
	s_waitcnt lgkmcnt(0)
	v_mul_f32_e32 v6, v34, v67
	v_fma_f32 v111, v30, v66, -v6
	v_mul_f32_e32 v128, v30, v67
	s_waitcnt vmcnt(6)
	v_mul_f32_e32 v6, v7, v75
	v_fmac_f32_e32 v128, v34, v66
	v_fma_f32 v34, v33, v74, -v6
	v_mul_f32_e32 v33, v33, v75
	v_fmac_f32_e32 v33, v7, v74
	ds_read2_b32 v[6:7], v108 offset0:120 offset1:220
	v_mul_f32_e32 v30, v35, v77
	v_fma_f32 v74, v31, v76, -v30
	v_mul_f32_e32 v75, v31, v77
	ds_read2_b32 v[30:31], v93 offset0:96 offset1:196
	v_fmac_f32_e32 v75, v35, v76
	s_waitcnt vmcnt(5) lgkmcnt(1)
	v_mul_f32_e32 v35, v6, v79
	v_fma_f32 v35, v28, v78, -v35
	v_mul_f32_e32 v28, v28, v79
	v_fmac_f32_e32 v28, v6, v78
	s_waitcnt lgkmcnt(0)
	v_mul_f32_e32 v6, v30, v81
	v_fma_f32 v76, v26, v80, -v6
	v_mul_f32_e32 v77, v26, v81
	s_waitcnt vmcnt(4)
	v_mul_f32_e32 v6, v7, v89
	v_fmac_f32_e32 v77, v30, v80
	v_fma_f32 v30, v29, v88, -v6
	v_mul_f32_e32 v29, v29, v89
	v_mul_f32_e32 v26, v31, v91
	v_fmac_f32_e32 v29, v7, v88
	ds_read2_b32 v[6:7], v99 offset0:64 offset1:164
	v_fma_f32 v78, v27, v90, -v26
	v_mul_f32_e32 v79, v27, v91
	ds_read2_b32 v[26:27], v112 offset0:40 offset1:140
	s_waitcnt vmcnt(3)
	v_mul_f32_e32 v80, v24, v103
	v_fmac_f32_e32 v79, v31, v90
	s_waitcnt lgkmcnt(1)
	v_mul_f32_e32 v31, v6, v103
	v_fmac_f32_e32 v80, v6, v102
	s_waitcnt lgkmcnt(0)
	v_mul_f32_e32 v6, v26, v105
	v_fma_f32 v81, v22, v104, -v6
	s_waitcnt vmcnt(2)
	v_mul_f32_e32 v6, v7, v121
	v_mul_f32_e32 v103, v25, v121
	v_fma_f32 v31, v24, v102, -v31
	v_fma_f32 v102, v25, v120, -v6
	v_fmac_f32_e32 v103, v7, v120
	ds_read2_b32 v[6:7], v94 offset0:8 offset1:108
	v_mul_f32_e32 v88, v22, v105
	v_mul_f32_e32 v22, v27, v123
	v_fmac_f32_e32 v88, v26, v104
	v_fma_f32 v104, v23, v122, -v22
	v_mul_f32_e32 v105, v23, v123
	ds_read2_b32 v[22:23], v100 offset0:112 offset1:212
	s_waitcnt vmcnt(1) lgkmcnt(1)
	v_mul_f32_e32 v24, v6, v125
	v_fma_f32 v120, v20, v124, -v24
	v_mul_f32_e32 v20, v20, v125
	v_fmac_f32_e32 v20, v6, v124
	s_waitcnt lgkmcnt(0)
	v_mul_f32_e32 v6, v22, v127
	v_fma_f32 v6, v0, v126, -v6
	v_mul_f32_e32 v0, v0, v127
	v_fmac_f32_e32 v0, v22, v126
	s_waitcnt vmcnt(0)
	v_mul_f32_e32 v22, v7, v3
	v_mul_f32_e32 v3, v21, v3
	v_fma_f32 v22, v21, v2, -v22
	v_fmac_f32_e32 v3, v7, v2
	v_mul_f32_e32 v2, v23, v5
	v_fmac_f32_e32 v51, v46, v52
	v_fma_f32 v2, v1, v4, -v2
	v_mul_f32_e32 v1, v1, v5
	v_add_f32_e32 v5, v84, v50
	v_mov_b32_e32 v64, 2
	v_fmac_f32_e32 v1, v23, v4
	v_add_f32_e32 v4, v116, v84
	v_fmac_f32_e32 v116, -0.5, v5
	v_mul_u32_u24_e32 v5, 0x78, v11
	v_lshlrev_b32_sdwa v7, v64, v12 dst_sel:DWORD dst_unused:UNUSED_PAD src0_sel:DWORD src1_sel:BYTE_0
	v_sub_f32_e32 v24, v42, v51
	v_fmac_f32_e32 v109, v47, v56
	v_add3_u32 v5, 0, v5, v7
	v_add_f32_e32 v4, v4, v50
	v_fmamk_f32 v25, v24, 0x3f5db3d7, v116
	v_fmac_f32_e32 v116, 0xbf5db3d7, v24
	v_add_f32_e32 v24, v101, v107
	v_lshlrev_b32_sdwa v9, v64, v9 dst_sel:DWORD dst_unused:UNUSED_PAD src0_sel:DWORD src1_sel:BYTE_0
	ds_read_b32 v7, v117
	ds_read_b32 v11, v118
	;; [unrolled: 1-line block ×10, first 2 shown]
	s_waitcnt lgkmcnt(0)
	s_barrier
	ds_write2_b32 v5, v4, v25 offset1:10
	v_add_f32_e32 v4, v63, v101
	v_fmac_f32_e32 v63, -0.5, v24
	v_add3_u32 v8, 0, v8, v9
	v_sub_f32_e32 v9, v106, v109
	v_add_f32_e32 v4, v4, v107
	v_fmamk_f32 v24, v9, 0x3f5db3d7, v63
	v_fmac_f32_e32 v63, 0xbf5db3d7, v9
	v_add_f32_e32 v9, v110, v111
	ds_write_b32 v5, v116 offset:80
	ds_write2_b32 v8, v4, v24 offset1:10
	v_add_f32_e32 v4, v62, v110
	v_fmac_f32_e32 v62, -0.5, v9
	v_perm_b32 v9, v14, v15, s3
	v_pk_mul_lo_u16 v9, v9, s6 op_sel_hi:[1,0]
	v_add_f32_e32 v4, v4, v111
	v_lshrrev_b32_e32 v14, 16, v9
	v_add3_u32 v13, 0, v14, v13
	v_sub_f32_e32 v14, v32, v128
	v_fmamk_f32 v15, v14, 0x3f5db3d7, v62
	v_fmac_f32_e32 v62, 0xbf5db3d7, v14
	v_add_f32_e32 v14, v34, v74
	ds_write_b32 v8, v63 offset:80
	ds_write2_b32 v13, v4, v15 offset1:10
	v_add_f32_e32 v4, v59, v34
	v_fmac_f32_e32 v59, -0.5, v14
	v_and_b32_e32 v9, 0xfff8, v9
	v_lshlrev_b32_e32 v14, 2, v17
	v_add3_u32 v9, 0, v9, v14
	v_sub_f32_e32 v14, v33, v75
	v_add_f32_e32 v4, v4, v74
	v_fmamk_f32 v15, v14, 0x3f5db3d7, v59
	v_fmac_f32_e32 v59, 0xbf5db3d7, v14
	v_add_f32_e32 v14, v35, v76
	ds_write_b32 v13, v62 offset:80
	ds_write2_b32 v9, v4, v15 offset1:10
	v_add_f32_e32 v4, v58, v35
	v_fmac_f32_e32 v58, -0.5, v14
	v_perm_b32 v14, v45, v19, s3
	v_pk_mul_lo_u16 v14, v14, s6 op_sel_hi:[1,0]
	v_lshlrev_b32_e32 v15, 2, v40
	v_and_b32_e32 v17, 0xfff8, v14
	v_add3_u32 v15, 0, v17, v15
	v_sub_f32_e32 v17, v28, v77
	v_add_f32_e32 v4, v4, v76
	v_fmamk_f32 v19, v17, 0x3f5db3d7, v58
	v_fmac_f32_e32 v58, 0xbf5db3d7, v17
	v_add_f32_e32 v17, v30, v78
	ds_write_b32 v9, v59 offset:80
	ds_write2_b32 v15, v4, v19 offset1:10
	v_add_f32_e32 v4, v48, v30
	v_fmac_f32_e32 v48, -0.5, v17
	v_lshrrev_b32_e32 v14, 16, v14
	v_lshlrev_b32_e32 v17, 2, v49
	v_add3_u32 v14, 0, v14, v17
	v_sub_f32_e32 v17, v29, v79
	v_add_f32_e32 v4, v4, v78
	v_fmamk_f32 v19, v17, 0x3f5db3d7, v48
	v_fmac_f32_e32 v48, 0xbf5db3d7, v17
	v_add_f32_e32 v17, v31, v81
	ds_write_b32 v15, v58 offset:80
	ds_write2_b32 v14, v4, v19 offset1:10
	v_add_f32_e32 v4, v44, v31
	v_fmac_f32_e32 v44, -0.5, v17
	v_perm_b32 v17, v68, v60, s3
	v_pk_mul_lo_u16 v17, v17, s6 op_sel_hi:[1,0]
	v_lshlrev_b32_e32 v19, 2, v61
	v_and_b32_e32 v24, 0xfff8, v17
	v_add3_u32 v19, 0, v24, v19
	v_sub_f32_e32 v24, v80, v88
	v_add_f32_e32 v4, v4, v81
	v_fmamk_f32 v25, v24, 0x3f5db3d7, v44
	v_fmac_f32_e32 v44, 0xbf5db3d7, v24
	v_add_f32_e32 v24, v102, v104
	v_fmac_f32_e32 v105, v27, v122
	ds_write_b32 v14, v48 offset:80
	ds_write2_b32 v19, v4, v25 offset1:10
	v_add_f32_e32 v4, v18, v102
	v_fmac_f32_e32 v18, -0.5, v24
	v_lshrrev_b32_e32 v17, 16, v17
	v_lshlrev_b32_e32 v24, 2, v70
	v_add3_u32 v17, 0, v17, v24
	v_sub_f32_e32 v24, v103, v105
	v_fmamk_f32 v25, v24, 0x3f5db3d7, v18
	v_fmac_f32_e32 v18, 0xbf5db3d7, v24
	ds_write_b32 v19, v44 offset:80
	ds_write_b32 v17, v18 offset:80
	v_perm_b32 v18, v85, v71, s3
	v_add_f32_e32 v4, v4, v104
	v_add_f32_e32 v24, v120, v6
	v_pk_mul_lo_u16 v18, v18, s6 op_sel_hi:[1,0]
	ds_write2_b32 v17, v4, v25 offset1:10
	v_add_f32_e32 v4, v16, v120
	v_fmac_f32_e32 v16, -0.5, v24
	v_lshlrev_b32_e32 v24, 2, v72
	v_and_b32_e32 v25, 0xfff8, v18
	v_add3_u32 v62, 0, v25, v24
	v_sub_f32_e32 v24, v20, v0
	v_fmamk_f32 v25, v24, 0x3f5db3d7, v16
	v_fmac_f32_e32 v16, 0xbf5db3d7, v24
	v_add_f32_e32 v4, v4, v6
	v_add_f32_e32 v24, v22, v2
	ds_write_b32 v62, v16 offset:80
	v_lshrrev_b32_e32 v16, 16, v18
	v_lshlrev_b32_e32 v18, 2, v98
	ds_write2_b32 v62, v4, v25 offset1:10
	v_add_f32_e32 v4, v10, v22
	v_fmac_f32_e32 v10, -0.5, v24
	v_add3_u32 v16, 0, v16, v18
	v_sub_f32_e32 v18, v3, v1
	v_add_f32_e32 v4, v4, v2
	v_fmamk_f32 v24, v18, 0x3f5db3d7, v10
	ds_write2_b32 v16, v4, v24 offset1:10
	v_add_f32_e32 v24, v42, v51
	v_add_f32_e32 v4, v21, v42
	v_fmac_f32_e32 v21, -0.5, v24
	v_sub_f32_e32 v63, v84, v50
	v_fmac_f32_e32 v10, 0xbf5db3d7, v18
	v_add_f32_e32 v4, v4, v51
	ds_write_b32 v16, v10 offset:80
	v_fmamk_f32 v10, v63, 0xbf5db3d7, v21
	v_fmac_f32_e32 v21, 0x3f5db3d7, v63
	s_waitcnt lgkmcnt(0)
	s_barrier
	v_add_u32_e32 v65, 0x400, v82
	v_add_u32_e32 v66, 0xa00, v82
	ds_read_b32 v68, v82
	ds_read_b32 v91, v83
	;; [unrolled: 1-line block ×6, first 2 shown]
	ds_read2_b32 v[60:61], v92 offset0:48 offset1:148
	ds_read2_b32 v[56:57], v108 offset0:120 offset1:220
	;; [unrolled: 1-line block ×12, first 2 shown]
	s_waitcnt lgkmcnt(0)
	s_barrier
	ds_write2_b32 v5, v4, v10 offset1:10
	ds_write_b32 v5, v21 offset:80
	v_add_f32_e32 v5, v106, v109
	v_add_f32_e32 v4, v119, v106
	v_fmac_f32_e32 v119, -0.5, v5
	v_sub_f32_e32 v5, v101, v107
	v_add_f32_e32 v4, v4, v109
	v_fmamk_f32 v10, v5, 0xbf5db3d7, v119
	v_fmac_f32_e32 v119, 0x3f5db3d7, v5
	v_add_f32_e32 v5, v32, v128
	ds_write2_b32 v8, v4, v10 offset1:10
	v_add_f32_e32 v4, v118, v32
	v_fmac_f32_e32 v118, -0.5, v5
	v_sub_f32_e32 v5, v110, v111
	ds_write_b32 v8, v119 offset:80
	v_add_f32_e32 v4, v4, v128
	v_fmamk_f32 v8, v5, 0xbf5db3d7, v118
	v_fmac_f32_e32 v118, 0x3f5db3d7, v5
	v_add_f32_e32 v5, v33, v75
	ds_write2_b32 v13, v4, v8 offset1:10
	v_add_f32_e32 v4, v23, v33
	v_fmac_f32_e32 v23, -0.5, v5
	v_sub_f32_e32 v5, v34, v74
	v_add_f32_e32 v4, v4, v75
	v_fmamk_f32 v8, v5, 0xbf5db3d7, v23
	v_fmac_f32_e32 v23, 0x3f5db3d7, v5
	v_add_f32_e32 v5, v28, v77
	ds_write_b32 v13, v118 offset:80
	ds_write2_b32 v9, v4, v8 offset1:10
	v_add_f32_e32 v4, v115, v28
	v_fmac_f32_e32 v115, -0.5, v5
	v_sub_f32_e32 v5, v35, v76
	v_add_f32_e32 v4, v4, v77
	v_fmamk_f32 v8, v5, 0xbf5db3d7, v115
	v_fmac_f32_e32 v115, 0x3f5db3d7, v5
	v_add_f32_e32 v5, v29, v79
	ds_write_b32 v9, v23 offset:80
	ds_write2_b32 v15, v4, v8 offset1:10
	v_add_f32_e32 v4, v7, v29
	v_fmac_f32_e32 v7, -0.5, v5
	v_sub_f32_e32 v5, v30, v78
	v_add_f32_e32 v9, v80, v88
	v_fmamk_f32 v8, v5, 0xbf5db3d7, v7
	v_fmac_f32_e32 v7, 0x3f5db3d7, v5
	v_add_f32_e32 v5, v117, v80
	v_fmac_f32_e32 v117, -0.5, v9
	v_sub_f32_e32 v9, v31, v81
	v_add_f32_e32 v13, v103, v105
	v_fmamk_f32 v10, v9, 0xbf5db3d7, v117
	v_fmac_f32_e32 v117, 0x3f5db3d7, v9
	v_add_f32_e32 v9, v11, v103
	v_fmac_f32_e32 v11, -0.5, v13
	v_sub_f32_e32 v13, v102, v104
	ds_write_b32 v15, v115 offset:80
	v_fmamk_f32 v15, v13, 0xbf5db3d7, v11
	v_fmac_f32_e32 v11, 0x3f5db3d7, v13
	v_add_f32_e32 v13, v12, v20
	v_add_f32_e32 v13, v13, v0
	;; [unrolled: 1-line block ×3, first 2 shown]
	v_fmac_f32_e32 v12, -0.5, v0
	v_sub_f32_e32 v0, v120, v6
	v_fmamk_f32 v6, v0, 0xbf5db3d7, v12
	v_fmac_f32_e32 v12, 0x3f5db3d7, v0
	v_add_f32_e32 v0, v121, v3
	v_add_f32_e32 v0, v0, v1
	;; [unrolled: 1-line block ×3, first 2 shown]
	v_fmac_f32_e32 v121, -0.5, v1
	v_sub_f32_e32 v1, v22, v2
	s_movk_i32 s3, 0x89
	v_fmamk_f32 v2, v1, 0xbf5db3d7, v121
	v_fmac_f32_e32 v121, 0x3f5db3d7, v1
	v_mul_lo_u16_sdwa v1, v159, s3 dst_sel:DWORD dst_unused:UNUSED_PAD src0_sel:BYTE_0 src1_sel:DWORD
	v_lshrrev_b16_e32 v85, 12, v1
	v_add_f32_e32 v4, v4, v79
	v_mul_lo_u16_e32 v1, 30, v85
	v_add_f32_e32 v5, v5, v88
	v_add_f32_e32 v9, v9, v105
	ds_write2_b32 v14, v4, v8 offset1:10
	ds_write_b32 v14, v7 offset:80
	ds_write2_b32 v19, v5, v10 offset1:10
	ds_write_b32 v19, v117 offset:80
	;; [unrolled: 2-line block ×5, first 2 shown]
	v_mov_b32_e32 v0, 9
	v_sub_u16_e32 v88, v159, v1
	v_mul_u32_u24_sdwa v1, v88, v0 dst_sel:DWORD dst_unused:UNUSED_PAD src0_sel:BYTE_0 src1_sel:DWORD
	v_lshlrev_b32_e32 v102, 3, v1
	s_waitcnt lgkmcnt(0)
	s_barrier
	global_load_dwordx4 v[28:31], v102, s[4:5] offset:160
	s_mov_b32 s6, 0x8889
	v_mul_u32_u24_sdwa v1, v41, s6 dst_sel:DWORD dst_unused:UNUSED_PAD src0_sel:WORD_0 src1_sel:DWORD
	v_lshrrev_b32_e32 v81, 20, v1
	v_mul_lo_u16_e32 v1, 30, v81
	v_sub_u16_e32 v84, v41, v1
	v_mul_u32_u24_e32 v1, 9, v84
	v_lshlrev_b32_e32 v103, 3, v1
	global_load_dwordx4 v[104:107], v103, s[4:5] offset:160
	v_mul_lo_u16_sdwa v1, v158, s3 dst_sel:DWORD dst_unused:UNUSED_PAD src0_sel:BYTE_0 src1_sel:DWORD
	v_lshrrev_b16_e32 v98, 12, v1
	v_mul_lo_u16_e32 v1, 30, v98
	v_sub_u16_e32 v101, v158, v1
	v_mul_u32_u24_sdwa v0, v101, v0 dst_sel:DWORD dst_unused:UNUSED_PAD src0_sel:BYTE_0 src1_sel:DWORD
	v_lshlrev_b32_e32 v72, 3, v0
	global_load_dwordx4 v[0:3], v72, s[4:5] offset:160
	global_load_dwordx4 v[4:7], v72, s[4:5] offset:176
	;; [unrolled: 1-line block ×6, first 2 shown]
	ds_read2_b32 v[70:71], v65 offset0:144 offset1:244
	ds_read2_b32 v[110:111], v66 offset0:60 offset1:160
	global_load_dwordx2 v[62:63], v72, s[4:5] offset:224
	s_waitcnt vmcnt(8) lgkmcnt(1)
	v_mul_f32_e32 v32, v70, v29
	v_fma_f32 v76, v26, v28, -v32
	global_load_dwordx4 v[32:35], v103, s[4:5] offset:192
	v_mul_f32_e32 v77, v26, v29
	s_waitcnt lgkmcnt(0)
	v_mul_f32_e32 v26, v110, v31
	v_mul_f32_e32 v79, v24, v31
	v_fmac_f32_e32 v77, v70, v28
	v_fma_f32 v80, v24, v30, -v26
	v_fmac_f32_e32 v79, v110, v30
	global_load_dwordx4 v[28:31], v72, s[4:5] offset:208
	s_waitcnt vmcnt(9)
	v_mul_f32_e32 v24, v71, v105
	v_fma_f32 v70, v27, v104, -v24
	v_mul_f32_e32 v24, v111, v107
	v_mul_f32_e32 v72, v27, v105
	v_fma_f32 v75, v25, v106, -v24
	v_mul_f32_e32 v74, v25, v107
	global_load_dwordx4 v[24:27], v102, s[4:5] offset:208
	v_fmac_f32_e32 v72, v71, v104
	v_fmac_f32_e32 v74, v111, v106
	ds_read_b32 v106, v83
	ds_read_b32 v105, v86
	;; [unrolled: 1-line block ×6, first 2 shown]
	s_waitcnt vmcnt(9) lgkmcnt(5)
	v_mul_f32_e32 v109, v106, v1
	v_fma_f32 v109, v91, v0, -v109
	v_mul_f32_e32 v91, v91, v1
	v_fmac_f32_e32 v91, v106, v0
	s_waitcnt lgkmcnt(4)
	v_mul_f32_e32 v0, v105, v3
	global_load_dwordx4 v[116:119], v103, s[4:5] offset:208
	v_fma_f32 v106, v90, v2, -v0
	ds_read2_b32 v[0:1], v92 offset0:48 offset1:148
	v_mul_f32_e32 v90, v90, v3
	v_fmac_f32_e32 v90, v105, v2
	s_waitcnt vmcnt(9) lgkmcnt(4)
	v_mul_f32_e32 v2, v104, v5
	v_fma_f32 v105, v89, v4, -v2
	v_mul_f32_e32 v110, v89, v5
	s_waitcnt lgkmcnt(0)
	v_mul_f32_e32 v2, v0, v7
	v_fmac_f32_e32 v110, v104, v4
	v_fma_f32 v104, v60, v6, -v2
	global_load_dwordx2 v[2:3], v102, s[4:5] offset:224
	v_mul_f32_e32 v111, v60, v7
	v_fmac_f32_e32 v111, v0, v6
	global_load_dwordx2 v[6:7], v103, s[4:5] offset:224
	ds_read2_b32 v[4:5], v96 offset0:104 offset1:204
	s_waitcnt vmcnt(10)
	v_mul_f32_e32 v0, v1, v11
	v_fma_f32 v89, v61, v10, -v0
	v_mul_f32_e32 v61, v61, v11
	v_fmac_f32_e32 v61, v1, v10
	s_waitcnt lgkmcnt(0)
	v_mul_f32_e32 v0, v4, v9
	v_mul_f32_e32 v10, v58, v9
	v_fma_f32 v0, v58, v8, -v0
	v_fmac_f32_e32 v10, v4, v8
	ds_read2_b32 v[8:9], v108 offset0:120 offset1:220
	s_waitcnt vmcnt(9)
	v_mul_f32_e32 v1, v5, v13
	v_mul_f32_e32 v13, v59, v13
	v_fmac_f32_e32 v13, v5, v12
	ds_read2_b32 v[4:5], v94 offset0:8 offset1:108
	v_fma_f32 v11, v59, v12, -v1
	s_waitcnt lgkmcnt(1)
	v_mul_f32_e32 v1, v8, v15
	v_fma_f32 v58, v56, v14, -v1
	v_mul_f32_e32 v1, v56, v15
	v_fmac_f32_e32 v1, v8, v14
	s_waitcnt vmcnt(8)
	v_mul_f32_e32 v8, v9, v17
	v_fma_f32 v12, v57, v16, -v8
	v_mul_f32_e32 v14, v57, v17
	s_waitcnt lgkmcnt(0)
	v_mul_f32_e32 v8, v4, v19
	v_fmac_f32_e32 v14, v9, v16
	v_fma_f32 v15, v54, v18, -v8
	ds_read2_b32 v[8:9], v99 offset0:64 offset1:164
	v_mul_f32_e32 v56, v54, v19
	v_fmac_f32_e32 v56, v4, v18
	s_waitcnt vmcnt(7)
	v_mul_f32_e32 v4, v5, v23
	v_fma_f32 v57, v55, v22, -v4
	v_mul_f32_e32 v54, v55, v23
	s_waitcnt lgkmcnt(0)
	v_mul_f32_e32 v4, v8, v21
	v_fmac_f32_e32 v54, v5, v22
	v_fma_f32 v16, v52, v20, -v4
	ds_read2_b32 v[4:5], v97 offset0:80 offset1:180
	v_mul_f32_e32 v55, v52, v21
	v_fmac_f32_e32 v55, v8, v20
	s_waitcnt vmcnt(5)
	v_mul_f32_e32 v8, v9, v33
	v_fma_f32 v17, v53, v32, -v8
	v_mul_f32_e32 v20, v53, v33
	s_waitcnt lgkmcnt(0)
	v_mul_f32_e32 v8, v4, v35
	v_fmac_f32_e32 v20, v9, v32
	v_fma_f32 v23, v50, v34, -v8
	ds_read2_b32 v[8:9], v93 offset0:96 offset1:196
	v_mul_f32_e32 v21, v50, v35
	v_fmac_f32_e32 v21, v4, v34
	s_waitcnt vmcnt(4)
	v_mul_f32_e32 v4, v5, v29
	v_fma_f32 v18, v51, v28, -v4
	v_mul_f32_e32 v19, v51, v29
	s_waitcnt lgkmcnt(0)
	v_mul_f32_e32 v4, v8, v31
	v_fmac_f32_e32 v19, v5, v28
	v_fma_f32 v28, v48, v30, -v4
	ds_read2_b32 v[4:5], v95 offset0:152 offset1:252
	v_mul_f32_e32 v29, v48, v31
	v_fmac_f32_e32 v29, v8, v30
	s_waitcnt vmcnt(3)
	v_mul_f32_e32 v8, v9, v27
	v_fma_f32 v30, v49, v26, -v8
	v_mul_f32_e32 v27, v49, v27
	s_waitcnt lgkmcnt(0)
	v_mul_f32_e32 v8, v4, v25
	v_fmac_f32_e32 v27, v9, v26
	v_fma_f32 v31, v46, v24, -v8
	ds_read2_b32 v[8:9], v112 offset0:40 offset1:140
	v_mul_f32_e32 v32, v46, v25
	v_fmac_f32_e32 v32, v4, v24
	s_waitcnt vmcnt(2)
	v_mul_f32_e32 v4, v5, v117
	v_fma_f32 v33, v47, v116, -v4
	v_mul_f32_e32 v22, v47, v117
	s_waitcnt lgkmcnt(0)
	v_mul_f32_e32 v4, v8, v119
	v_fmac_f32_e32 v22, v5, v116
	v_fma_f32 v26, v44, v118, -v4
	ds_read2_b32 v[4:5], v100 offset0:112 offset1:212
	v_mul_f32_e32 v24, v44, v119
	v_fmac_f32_e32 v24, v8, v118
	v_mul_f32_e32 v8, v9, v63
	v_mul_f32_e32 v34, v45, v63
	s_waitcnt vmcnt(1)
	v_mul_f32_e32 v35, v42, v3
	v_fma_f32 v8, v45, v62, -v8
	v_fmac_f32_e32 v34, v9, v62
	s_waitcnt lgkmcnt(0)
	v_mul_f32_e32 v9, v4, v3
	v_fmac_f32_e32 v35, v4, v2
	s_waitcnt vmcnt(0)
	v_mul_f32_e32 v25, v43, v7
	v_sub_f32_e32 v3, v106, v104
	v_sub_f32_e32 v4, v28, v15
	v_fma_f32 v9, v42, v2, -v9
	v_mul_f32_e32 v2, v5, v7
	v_fmac_f32_e32 v25, v5, v6
	v_add_f32_e32 v3, v3, v4
	v_sub_f32_e32 v4, v105, v12
	v_sub_f32_e32 v5, v8, v18
	v_fma_f32 v2, v43, v6, -v2
	v_add_f32_e32 v4, v4, v5
	v_sub_f32_e32 v5, v110, v14
	v_sub_f32_e32 v6, v34, v19
	v_add_f32_e32 v51, v14, v19
	v_add_f32_e32 v5, v5, v6
	v_mul_u32_u24_e32 v6, 0x4b0, v98
	v_lshlrev_b32_sdwa v7, v64, v101 dst_sel:DWORD dst_unused:UNUSED_PAD src0_sel:DWORD src1_sel:BYTE_0
	v_add_f32_e32 v47, v12, v18
	v_fma_f32 v51, -0.5, v51, v91
	v_sub_f32_e32 v52, v105, v8
	v_add3_u32 v42, 0, v6, v7
	v_add_f32_e32 v7, v104, v15
	v_fma_f32 v50, -0.5, v47, v109
	v_sub_f32_e32 v47, v110, v34
	v_fmamk_f32 v53, v52, 0xbf737871, v51
	v_sub_f32_e32 v59, v12, v18
	v_add_f32_e32 v6, v68, v106
	v_fma_f32 v7, -0.5, v7, v68
	v_sub_f32_e32 v43, v90, v29
	v_add_f32_e32 v46, v109, v105
	v_fmamk_f32 v48, v47, 0x3f737871, v50
	v_sub_f32_e32 v49, v14, v19
	v_fmac_f32_e32 v53, 0xbf167918, v59
	v_add_f32_e32 v6, v6, v104
	v_fmamk_f32 v44, v43, 0x3f737871, v7
	v_sub_f32_e32 v45, v111, v56
	v_add_f32_e32 v46, v46, v12
	v_fmac_f32_e32 v48, 0x3f167918, v49
	v_fmac_f32_e32 v53, 0x3e9e377a, v5
	v_add_f32_e32 v6, v6, v15
	v_fmac_f32_e32 v44, 0x3f167918, v45
	v_add_f32_e32 v46, v46, v18
	v_fmac_f32_e32 v48, 0x3e9e377a, v4
	v_mul_f32_e32 v60, 0x3f167918, v53
	v_add_f32_e32 v6, v6, v28
	v_fmac_f32_e32 v44, 0x3e9e377a, v3
	v_add_f32_e32 v46, v46, v8
	v_fmac_f32_e32 v60, 0x3f4f1bbd, v48
	v_add_f32_e32 v62, v6, v46
	v_add_f32_e32 v63, v44, v60
	s_barrier
	ds_write2_b32 v42, v62, v63 offset1:30
	v_add_f32_e32 v62, v106, v28
	v_fmac_f32_e32 v68, -0.5, v62
	v_sub_f32_e32 v62, v104, v106
	v_sub_f32_e32 v63, v15, v28
	v_add_f32_e32 v62, v62, v63
	v_fmamk_f32 v63, v45, 0xbf737871, v68
	v_fmac_f32_e32 v68, 0x3f737871, v45
	v_fmac_f32_e32 v63, 0x3f167918, v43
	;; [unrolled: 1-line block ×5, first 2 shown]
	v_add_f32_e32 v62, v105, v8
	v_fmac_f32_e32 v109, -0.5, v62
	v_sub_f32_e32 v12, v12, v105
	v_sub_f32_e32 v8, v18, v8
	v_fmamk_f32 v98, v49, 0xbf737871, v109
	v_fmac_f32_e32 v109, 0x3f737871, v49
	v_add_f32_e32 v8, v12, v8
	v_fmac_f32_e32 v98, 0x3f167918, v47
	v_fmac_f32_e32 v109, 0xbf167918, v47
	v_add_f32_e32 v12, v110, v34
	v_fmac_f32_e32 v98, 0x3e9e377a, v8
	v_fmac_f32_e32 v109, 0x3e9e377a, v8
	v_add_f32_e32 v8, v91, v110
	v_fmac_f32_e32 v91, -0.5, v12
	v_fmac_f32_e32 v50, 0xbf737871, v47
	v_sub_f32_e32 v12, v14, v110
	v_sub_f32_e32 v18, v19, v34
	v_fmamk_f32 v101, v59, 0x3f737871, v91
	v_fmac_f32_e32 v50, 0xbf167918, v49
	v_fmac_f32_e32 v51, 0x3f737871, v52
	v_add_f32_e32 v12, v12, v18
	v_fmac_f32_e32 v101, 0xbf167918, v52
	v_fmac_f32_e32 v91, 0xbf737871, v59
	v_fmac_f32_e32 v7, 0xbf737871, v43
	v_fmac_f32_e32 v50, 0x3e9e377a, v4
	v_fmac_f32_e32 v51, 0x3f167918, v59
	v_fmac_f32_e32 v101, 0x3e9e377a, v12
	v_fmac_f32_e32 v91, 0x3f167918, v52
	v_fmac_f32_e32 v7, 0xbf167918, v45
	v_fmac_f32_e32 v51, 0x3e9e377a, v5
	v_mul_f32_e32 v4, 0x3f4f1bbd, v50
	v_fmac_f32_e32 v91, 0x3e9e377a, v12
	v_mul_f32_e32 v12, 0x3f737871, v101
	v_fmac_f32_e32 v7, 0x3e9e377a, v3
	v_fma_f32 v4, v51, s1, -v4
	v_fmac_f32_e32 v12, 0x3e9e377a, v98
	v_mul_f32_e32 v18, 0x3e9e377a, v109
	v_sub_f32_e32 v3, v6, v46
	v_add_f32_e32 v5, v7, v4
	v_fma_f32 v18, v91, s2, -v18
	ds_write2_b32 v42, v5, v3 offset0:120 offset1:150
	v_sub_f32_e32 v3, v44, v60
	v_sub_f32_e32 v5, v63, v12
	ds_write2_b32 v42, v3, v5 offset0:180 offset1:210
	v_sub_f32_e32 v3, v68, v18
	v_sub_f32_e32 v4, v7, v4
	v_add_u32_e32 v43, 0x200, v42
	ds_write2_b32 v43, v3, v4 offset0:112 offset1:142
	v_sub_f32_e32 v3, v80, v89
	v_sub_f32_e32 v4, v30, v57
	v_add_f32_e32 v3, v3, v4
	v_sub_f32_e32 v4, v0, v16
	v_sub_f32_e32 v5, v9, v31
	v_add_f32_e32 v4, v4, v5
	;; [unrolled: 3-line block ×3, first 2 shown]
	v_add_f32_e32 v5, v5, v6
	v_lshlrev_b32_sdwa v6, v64, v88 dst_sel:DWORD dst_unused:UNUSED_PAD src0_sel:DWORD src1_sel:BYTE_0
	v_mul_u32_u24_e32 v7, 0x4b0, v85
	v_add_f32_e32 v46, v16, v31
	v_fma_f32 v85, -0.5, v49, v77
	v_sub_f32_e32 v49, v0, v9
	v_add_f32_e32 v62, v63, v12
	v_add3_u32 v59, 0, v7, v6
	v_add_f32_e32 v7, v89, v57
	v_fma_f32 v63, -0.5, v46, v76
	v_sub_f32_e32 v46, v10, v35
	v_fmamk_f32 v88, v49, 0xbf737871, v85
	v_sub_f32_e32 v52, v16, v31
	v_add_f32_e32 v102, v68, v18
	v_add_f32_e32 v6, v67, v80
	v_fma_f32 v7, -0.5, v7, v67
	v_sub_f32_e32 v12, v79, v27
	v_add_f32_e32 v45, v76, v0
	v_fmamk_f32 v68, v46, 0x3f737871, v63
	v_sub_f32_e32 v47, v55, v32
	v_fmac_f32_e32 v88, 0xbf167918, v52
	v_add_f32_e32 v6, v6, v89
	v_fmamk_f32 v18, v12, 0x3f737871, v7
	v_sub_f32_e32 v44, v61, v54
	v_add_f32_e32 v45, v45, v16
	v_fmac_f32_e32 v68, 0x3f167918, v47
	v_fmac_f32_e32 v88, 0x3e9e377a, v5
	v_add_f32_e32 v6, v6, v57
	v_fmac_f32_e32 v18, 0x3f167918, v44
	v_add_f32_e32 v45, v45, v31
	v_fmac_f32_e32 v68, 0x3e9e377a, v4
	v_mul_f32_e32 v60, 0x3f167918, v88
	v_add_f32_e32 v6, v6, v30
	v_fmac_f32_e32 v18, 0x3e9e377a, v3
	v_add_f32_e32 v45, v45, v9
	v_fmac_f32_e32 v60, 0x3f4f1bbd, v68
	ds_write2_b32 v42, v62, v102 offset0:60 offset1:90
	v_add_f32_e32 v62, v6, v45
	v_add_f32_e32 v64, v18, v60
	ds_write2_b32 v59, v62, v64 offset1:30
	v_add_f32_e32 v62, v80, v30
	v_fmac_f32_e32 v67, -0.5, v62
	v_sub_f32_e32 v62, v89, v80
	v_sub_f32_e32 v64, v57, v30
	v_add_f32_e32 v62, v62, v64
	v_fmamk_f32 v64, v44, 0xbf737871, v67
	v_fmac_f32_e32 v67, 0x3f737871, v44
	v_fmac_f32_e32 v64, 0x3f167918, v12
	;; [unrolled: 1-line block ×5, first 2 shown]
	v_add_f32_e32 v62, v0, v9
	v_fmac_f32_e32 v76, -0.5, v62
	v_sub_f32_e32 v0, v16, v0
	v_sub_f32_e32 v9, v31, v9
	v_fmamk_f32 v31, v47, 0xbf737871, v76
	v_fmac_f32_e32 v76, 0x3f737871, v47
	v_add_f32_e32 v0, v0, v9
	v_fmac_f32_e32 v31, 0x3f167918, v46
	v_fmac_f32_e32 v76, 0xbf167918, v46
	;; [unrolled: 1-line block ×4, first 2 shown]
	v_add_f32_e32 v0, v10, v35
	v_add_f32_e32 v102, v77, v10
	v_fmac_f32_e32 v77, -0.5, v0
	v_fmac_f32_e32 v63, 0xbf737871, v46
	v_sub_f32_e32 v0, v55, v10
	v_sub_f32_e32 v9, v32, v35
	v_fmamk_f32 v103, v52, 0x3f737871, v77
	v_fmac_f32_e32 v63, 0xbf167918, v47
	v_fmac_f32_e32 v85, 0x3f737871, v49
	v_add_f32_e32 v0, v0, v9
	v_fmac_f32_e32 v103, 0xbf167918, v49
	v_fmac_f32_e32 v77, 0xbf737871, v52
	;; [unrolled: 1-line block ×9, first 2 shown]
	v_mul_f32_e32 v4, 0x3f4f1bbd, v63
	v_fmac_f32_e32 v77, 0x3e9e377a, v0
	v_mul_f32_e32 v0, 0x3f737871, v103
	v_fmac_f32_e32 v7, 0x3e9e377a, v3
	v_fma_f32 v4, v85, s1, -v4
	v_fmac_f32_e32 v0, 0x3e9e377a, v31
	v_mul_f32_e32 v9, 0x3e9e377a, v76
	v_sub_f32_e32 v3, v6, v45
	v_add_f32_e32 v5, v7, v4
	v_fma_f32 v9, v77, s2, -v9
	v_add_f32_e32 v10, v64, v0
	ds_write2_b32 v59, v5, v3 offset0:120 offset1:150
	v_sub_f32_e32 v3, v18, v60
	v_sub_f32_e32 v0, v64, v0
	v_add_f32_e32 v16, v67, v9
	ds_write2_b32 v59, v3, v0 offset0:180 offset1:210
	v_sub_f32_e32 v0, v67, v9
	v_sub_f32_e32 v3, v7, v4
	v_add_u32_e32 v67, 0x200, v59
	ds_write2_b32 v67, v0, v3 offset0:112 offset1:142
	v_sub_f32_e32 v0, v75, v58
	v_sub_f32_e32 v3, v26, v23
	v_add_f32_e32 v0, v0, v3
	v_sub_f32_e32 v3, v11, v17
	v_sub_f32_e32 v4, v2, v33
	v_add_f32_e32 v3, v3, v4
	;; [unrolled: 3-line block ×3, first 2 shown]
	ds_write2_b32 v59, v10, v16 offset0:60 offset1:90
	v_add_f32_e32 v4, v4, v5
	v_mul_u32_u24_e32 v5, 0x4b0, v81
	v_lshlrev_b32_e32 v6, 2, v84
	v_add_f32_e32 v16, v17, v33
	v_fma_f32 v110, -0.5, v44, v72
	v_sub_f32_e32 v44, v11, v2
	v_add3_u32 v81, 0, v5, v6
	v_add_f32_e32 v6, v58, v23
	v_fma_f32 v84, -0.5, v16, v70
	v_sub_f32_e32 v16, v13, v25
	v_fmamk_f32 v115, v44, 0xbf737871, v110
	v_sub_f32_e32 v45, v17, v33
	v_add_f32_e32 v5, v40, v75
	v_fma_f32 v6, -0.5, v6, v40
	v_sub_f32_e32 v7, v74, v24
	v_add_f32_e32 v12, v70, v11
	v_fmamk_f32 v105, v16, 0x3f737871, v84
	v_sub_f32_e32 v18, v20, v22
	v_fmac_f32_e32 v115, 0xbf167918, v45
	v_add_f32_e32 v5, v5, v58
	v_fmamk_f32 v9, v7, 0x3f737871, v6
	v_sub_f32_e32 v10, v1, v21
	v_add_f32_e32 v12, v12, v17
	v_fmac_f32_e32 v105, 0x3f167918, v18
	v_fmac_f32_e32 v115, 0x3e9e377a, v4
	v_add_f32_e32 v5, v5, v23
	v_fmac_f32_e32 v9, 0x3f167918, v10
	v_add_f32_e32 v12, v12, v33
	v_fmac_f32_e32 v105, 0x3e9e377a, v3
	v_mul_f32_e32 v46, 0x3f167918, v115
	v_add_f32_e32 v5, v5, v26
	v_fmac_f32_e32 v9, 0x3e9e377a, v0
	v_add_f32_e32 v12, v12, v2
	v_fmac_f32_e32 v46, 0x3f4f1bbd, v105
	v_add_f32_e32 v47, v5, v12
	v_add_f32_e32 v49, v9, v46
	ds_write2_b32 v81, v47, v49 offset1:30
	v_add_f32_e32 v47, v75, v26
	v_fmac_f32_e32 v40, -0.5, v47
	v_sub_f32_e32 v47, v58, v75
	v_sub_f32_e32 v49, v23, v26
	v_add_f32_e32 v47, v47, v49
	v_fmamk_f32 v49, v10, 0xbf737871, v40
	v_fmac_f32_e32 v40, 0x3f737871, v10
	v_fmac_f32_e32 v49, 0x3f167918, v7
	;; [unrolled: 1-line block ×5, first 2 shown]
	v_add_f32_e32 v47, v11, v2
	v_fmac_f32_e32 v70, -0.5, v47
	v_sub_f32_e32 v11, v17, v11
	v_sub_f32_e32 v2, v33, v2
	v_fmamk_f32 v33, v18, 0xbf737871, v70
	v_fmac_f32_e32 v70, 0x3f737871, v18
	v_add_f32_e32 v2, v11, v2
	v_fmac_f32_e32 v33, 0x3f167918, v16
	v_fmac_f32_e32 v70, 0xbf167918, v16
	;; [unrolled: 1-line block ×4, first 2 shown]
	v_add_f32_e32 v2, v13, v25
	v_add_f32_e32 v116, v72, v13
	v_fmac_f32_e32 v72, -0.5, v2
	v_fmac_f32_e32 v84, 0xbf737871, v16
	v_sub_f32_e32 v2, v20, v13
	v_sub_f32_e32 v11, v22, v25
	v_fmamk_f32 v117, v45, 0x3f737871, v72
	v_fmac_f32_e32 v84, 0xbf167918, v18
	v_fmac_f32_e32 v110, 0x3f737871, v44
	v_add_f32_e32 v2, v2, v11
	v_fmac_f32_e32 v117, 0xbf167918, v44
	v_fmac_f32_e32 v72, 0xbf737871, v45
	;; [unrolled: 1-line block ×9, first 2 shown]
	v_mul_f32_e32 v3, 0x3f4f1bbd, v84
	v_fmac_f32_e32 v72, 0x3e9e377a, v2
	v_mul_f32_e32 v2, 0x3f737871, v117
	v_fmac_f32_e32 v6, 0x3e9e377a, v0
	v_fma_f32 v3, v110, s1, -v3
	v_fmac_f32_e32 v2, 0x3e9e377a, v33
	v_mul_f32_e32 v11, 0x3e9e377a, v70
	v_sub_f32_e32 v0, v5, v12
	v_add_f32_e32 v4, v6, v3
	v_fma_f32 v11, v72, s2, -v11
	v_add_f32_e32 v13, v49, v2
	ds_write2_b32 v81, v4, v0 offset0:120 offset1:150
	v_sub_f32_e32 v0, v9, v46
	v_sub_f32_e32 v2, v49, v2
	ds_write2_b32 v81, v0, v2 offset0:180 offset1:210
	v_sub_f32_e32 v0, v40, v11
	v_sub_f32_e32 v2, v6, v3
	v_add_u32_e32 v118, 0x200, v81
	ds_write2_b32 v118, v0, v2 offset0:112 offset1:142
	v_sub_f32_e32 v0, v90, v111
	v_sub_f32_e32 v2, v29, v56
	;; [unrolled: 1-line block ×3, first 2 shown]
	v_add_f32_e32 v106, v0, v2
	v_add_f32_e32 v0, v8, v14
	;; [unrolled: 1-line block ×6, first 2 shown]
	v_mul_f32_e32 v119, 0xbf167918, v48
	v_add_f32_e32 v0, v0, v56
	v_fmac_f32_e32 v119, 0x3f4f1bbd, v53
	v_add_f32_e32 v53, v0, v29
	v_add_f32_e32 v0, v111, v56
	v_fma_f32 v120, -0.5, v0, v107
	v_sub_f32_e32 v104, v104, v15
	v_fmamk_f32 v121, v28, 0xbf737871, v120
	v_fmac_f32_e32 v121, 0xbf167918, v104
	v_add_f32_e32 v17, v40, v11
	v_fmac_f32_e32 v121, 0x3e9e377a, v106
	ds_write2_b32 v81, v13, v17 offset0:60 offset1:90
	s_waitcnt lgkmcnt(0)
	s_barrier
	ds_read_b32 v0, v114
	ds_read_b32 v52, v82
	;; [unrolled: 1-line block ×6, first 2 shown]
	ds_read2_b32 v[48:49], v92 offset0:48 offset1:148
	ds_read2_b32 v[18:19], v108 offset0:120 offset1:220
	;; [unrolled: 1-line block ×12, first 2 shown]
	v_add_f32_e32 v113, v53, v34
	v_add_f32_e32 v114, v121, v119
	s_waitcnt lgkmcnt(0)
	s_barrier
	ds_write2_b32 v42, v113, v114 offset1:30
	v_add_f32_e32 v113, v90, v29
	v_fmac_f32_e32 v107, -0.5, v113
	v_sub_f32_e32 v90, v111, v90
	v_sub_f32_e32 v29, v56, v29
	v_fmamk_f32 v56, v104, 0x3f737871, v107
	v_fmac_f32_e32 v107, 0xbf737871, v104
	v_fmac_f32_e32 v120, 0x3f737871, v28
	v_add_f32_e32 v29, v90, v29
	v_fmac_f32_e32 v56, 0xbf167918, v28
	v_fmac_f32_e32 v107, 0x3f167918, v28
	;; [unrolled: 1-line block ×3, first 2 shown]
	v_mul_f32_e32 v28, 0x3f4f1bbd, v51
	v_fmac_f32_e32 v56, 0x3e9e377a, v29
	v_fmac_f32_e32 v107, 0x3e9e377a, v29
	v_mul_f32_e32 v29, 0xbf737871, v98
	v_fmac_f32_e32 v120, 0x3e9e377a, v106
	v_fma_f32 v28, v50, s7, -v28
	v_fmac_f32_e32 v29, 0x3e9e377a, v101
	v_mul_f32_e32 v90, 0x3e9e377a, v91
	v_sub_f32_e32 v34, v53, v34
	v_add_f32_e32 v50, v120, v28
	v_fma_f32 v90, v109, s12, -v90
	v_add_f32_e32 v91, v56, v29
	ds_write2_b32 v42, v50, v34 offset0:120 offset1:150
	v_sub_f32_e32 v34, v121, v119
	v_sub_f32_e32 v29, v56, v29
	ds_write2_b32 v42, v34, v29 offset0:180 offset1:210
	v_sub_f32_e32 v29, v107, v90
	v_sub_f32_e32 v28, v120, v28
	;; [unrolled: 3-line block ×3, first 2 shown]
	v_sub_f32_e32 v34, v27, v54
	v_add_f32_e32 v98, v107, v90
	v_add_f32_e32 v30, v30, v34
	;; [unrolled: 1-line block ×3, first 2 shown]
	ds_write2_b32 v42, v91, v98 offset0:60 offset1:90
	v_add_f32_e32 v32, v34, v32
	v_add_f32_e32 v42, v61, v54
	;; [unrolled: 1-line block ×4, first 2 shown]
	v_fma_f32 v42, -0.5, v42, v78
	v_sub_f32_e32 v29, v89, v57
	v_add_f32_e32 v35, v35, v61
	v_fmamk_f32 v43, v28, 0xbf737871, v42
	v_mul_f32_e32 v34, 0xbf167918, v68
	v_add_f32_e32 v35, v35, v54
	v_fmac_f32_e32 v43, 0xbf167918, v29
	v_fmac_f32_e32 v34, 0x3f4f1bbd, v88
	v_add_f32_e32 v35, v35, v27
	v_fmac_f32_e32 v43, 0x3e9e377a, v30
	v_add_f32_e32 v50, v35, v32
	v_add_f32_e32 v51, v43, v34
	ds_write2_b32 v59, v50, v51 offset1:30
	v_add_f32_e32 v50, v79, v27
	v_fmac_f32_e32 v78, -0.5, v50
	v_sub_f32_e32 v50, v61, v79
	v_sub_f32_e32 v27, v54, v27
	v_add_f32_e32 v27, v50, v27
	v_fmamk_f32 v50, v29, 0x3f737871, v78
	v_fmac_f32_e32 v78, 0xbf737871, v29
	v_fmac_f32_e32 v42, 0x3f737871, v28
	;; [unrolled: 1-line block ×5, first 2 shown]
	v_mul_f32_e32 v28, 0x3f4f1bbd, v85
	v_fmac_f32_e32 v50, 0x3e9e377a, v27
	v_fmac_f32_e32 v78, 0x3e9e377a, v27
	v_mul_f32_e32 v27, 0xbf737871, v31
	v_mul_f32_e32 v31, 0x3e9e377a, v77
	v_fmac_f32_e32 v42, 0x3e9e377a, v30
	v_fma_f32 v28, v63, s7, -v28
	v_fma_f32 v31, v76, s12, -v31
	v_sub_f32_e32 v29, v35, v32
	v_add_f32_e32 v30, v42, v28
	v_add_f32_e32 v53, v78, v31
	ds_write2_b32 v59, v30, v29 offset0:120 offset1:150
	v_sub_f32_e32 v30, v78, v31
	v_sub_f32_e32 v31, v74, v1
	;; [unrolled: 1-line block ×3, first 2 shown]
	v_add_f32_e32 v31, v31, v32
	v_add_f32_e32 v32, v1, v21
	v_sub_f32_e32 v26, v75, v26
	v_fma_f32 v32, -0.5, v32, v71
	v_sub_f32_e32 v29, v43, v34
	v_sub_f32_e32 v23, v58, v23
	v_fmamk_f32 v34, v26, 0xbf737871, v32
	v_fmac_f32_e32 v32, 0x3f737871, v26
	v_fmac_f32_e32 v34, 0xbf167918, v23
	;; [unrolled: 1-line block ×5, first 2 shown]
	v_add_f32_e32 v31, v71, v74
	v_add_f32_e32 v35, v74, v24
	v_add_f32_e32 v31, v31, v1
	v_fmac_f32_e32 v71, -0.5, v35
	v_sub_f32_e32 v1, v1, v74
	v_add_f32_e32 v31, v31, v21
	v_sub_f32_e32 v21, v21, v24
	v_add_f32_e32 v1, v1, v21
	v_fmamk_f32 v21, v23, 0x3f737871, v71
	v_fmac_f32_e32 v71, 0xbf737871, v23
	v_fmac_f32_e32 v21, 0xbf167918, v26
	;; [unrolled: 1-line block ×5, first 2 shown]
	v_add_f32_e32 v1, v116, v20
	v_fmac_f32_e32 v27, 0x3e9e377a, v103
	v_add_f32_e32 v31, v31, v24
	v_add_f32_e32 v1, v1, v22
	v_mul_f32_e32 v20, 0xbf167918, v105
	v_mul_f32_e32 v22, 0xbf737871, v33
	;; [unrolled: 1-line block ×4, first 2 shown]
	v_add_f32_e32 v51, v50, v27
	v_sub_f32_e32 v27, v50, v27
	v_add_f32_e32 v1, v1, v25
	v_fmac_f32_e32 v20, 0x3f4f1bbd, v115
	v_fmac_f32_e32 v22, 0x3e9e377a, v117
	v_fma_f32 v23, v70, s12, -v23
	v_fma_f32 v24, v84, s7, -v24
	ds_write2_b32 v59, v51, v53 offset0:60 offset1:90
	v_sub_f32_e32 v28, v42, v28
	v_add_f32_e32 v25, v31, v1
	v_sub_f32_e32 v1, v31, v1
	v_add_f32_e32 v26, v34, v20
	;; [unrolled: 2-line block ×5, first 2 shown]
	v_sub_f32_e32 v24, v32, v24
	ds_write2_b32 v59, v29, v27 offset0:180 offset1:210
	ds_write2_b32 v67, v30, v28 offset0:112 offset1:142
	ds_write2_b32 v81, v25, v26 offset1:30
	ds_write2_b32 v81, v31, v22 offset0:60 offset1:90
	ds_write2_b32 v81, v33, v1 offset0:120 offset1:150
	;; [unrolled: 1-line block ×4, first 2 shown]
	s_waitcnt lgkmcnt(0)
	s_barrier
	s_and_saveexec_b64 s[18:19], vcc
	s_cbranch_execz .LBB0_15
; %bb.14:
	s_mov_b32 s13, 0x1b4e81b5
	v_mul_hi_u32 v63, v158, s13
	v_lshrrev_b32_e32 v63, 5, v63
	v_mul_u32_u24_e32 v63, 0x12c, v63
	v_sub_u32_e32 v63, v158, v63
	v_mul_i32_i24_e32 v53, 0xffffffdc, v159
	v_mul_lo_u32 v20, s15, v38
	v_mul_lo_u32 v21, s14, v39
	v_mad_u64_u32 v[74:75], s[14:15], s14, v38, 0
	ds_read2_b32 v[26:27], v66 offset0:60 offset1:160
	ds_read2_b32 v[34:35], v108 offset0:120 offset1:220
	;; [unrolled: 1-line block ×4, first 2 shown]
	v_mad_u64_u32 v[66:67], s[14:15], s16, v63, 0
	v_mul_i32_i24_e32 v1, 0xffffffdc, v41
	v_mul_i32_i24_e32 v50, 9, v41
	v_mov_b32_e32 v51, 0
	v_add_u32_e32 v41, v69, v53
	v_mul_u32_u24_e32 v53, 9, v158
	v_mov_b32_e32 v68, v67
	v_lshl_add_u64 v[42:43], v[50:51], 3, s[4:5]
	v_add_u32_e32 v1, v73, v1
	v_mul_i32_i24_e32 v50, 9, v159
	v_lshlrev_b32_e32 v61, 3, v53
	v_mad_u64_u32 v[68:69], s[14:15], s17, v63, v[68:69]
	v_add3_u32 v75, v75, v21, v20
	ds_read_b32 v1, v1
	ds_read2_b32 v[32:33], v96 offset0:104 offset1:204
	ds_read2_b32 v[24:25], v99 offset0:64 offset1:164
	ds_read2_b32 v[28:29], v100 offset0:112 offset1:212
	ds_read2_b32 v[22:23], v95 offset0:152 offset1:252
	ds_read2_b32 v[20:21], v65 offset0:144 offset1:244
	v_lshl_add_u64 v[58:59], v[50:51], 3, s[4:5]
	ds_read2_b32 v[56:57], v92 offset0:48 offset1:148
	ds_read2_b32 v[50:51], v93 offset0:96 offset1:196
	;; [unrolled: 1-line block ×3, first 2 shown]
	ds_read_b32 v41, v41
	ds_read_b32 v53, v82
	;; [unrolled: 1-line block ×5, first 2 shown]
	v_mov_b32_e32 v67, v68
	global_load_dwordx4 v[68:71], v61, s[4:5] offset:2336
	v_lshl_add_u64 v[72:73], v[74:75], 3, s[10:11]
	v_lshl_add_u64 v[36:37], v[36:37], 3, v[72:73]
	global_load_dwordx4 v[72:75], v61, s[4:5] offset:2368
	global_load_dwordx4 v[76:79], v61, s[4:5] offset:2352
	;; [unrolled: 1-line block ×3, first 2 shown]
	global_load_dwordx2 v[96:97], v61, s[4:5] offset:2384
	v_add_u32_e32 v65, 0x12c, v63
	v_mad_u64_u32 v[90:91], s[10:11], s16, v65, 0
	v_mov_b32_e32 v92, v91
	v_mad_u64_u32 v[92:93], s[10:11], s17, v65, v[92:93]
	v_add_u32_e32 v65, 0x258, v63
	v_mov_b32_e32 v91, v92
	v_mad_u64_u32 v[92:93], s[10:11], s16, v65, 0
	v_mov_b32_e32 v94, v93
	v_mad_u64_u32 v[94:95], s[10:11], s17, v65, v[94:95]
	v_add_u32_e32 v61, 0x384, v63
	v_mov_b32_e32 v93, v94
	;; [unrolled: 5-line block ×8, first 2 shown]
	v_mad_u64_u32 v[108:109], s[4:5], s16, v61, 0
	v_mov_b32_e32 v110, v109
	v_mad_u64_u32 v[110:111], s[4:5], s17, v61, v[110:111]
	v_mov_b32_e32 v109, v110
	s_mov_b32 s4, s1
	s_mov_b32 s8, s9
	v_lshl_add_u64 v[66:67], v[66:67], 3, v[36:37]
	v_lshl_add_u64 v[90:91], v[90:91], 3, v[36:37]
	;; [unrolled: 1-line block ×3, first 2 shown]
	s_mov_b32 s6, s1
	v_lshl_add_u64 v[94:95], v[94:95], 3, v[36:37]
	v_lshl_add_u64 v[98:99], v[98:99], 3, v[36:37]
	;; [unrolled: 1-line block ×5, first 2 shown]
	s_waitcnt vmcnt(4) lgkmcnt(7)
	v_pk_mul_f32 v[110:111], v[70:71], v[56:57] op_sel_hi:[1,0]
	v_pk_mul_f32 v[62:63], v[62:63], v[68:69] op_sel_hi:[0,1]
	v_pk_fma_f32 v[112:113], v[48:49], v[70:71], v[110:111] op_sel:[0,0,1] op_sel_hi:[1,1,0] neg_lo:[0,0,1] neg_hi:[0,0,1]
	v_pk_fma_f32 v[70:71], v[48:49], v[70:71], v[110:111] op_sel:[0,0,1] op_sel_hi:[0,1,0]
	v_mov_b32_e32 v113, v71
	s_waitcnt vmcnt(2) lgkmcnt(5)
	v_pk_mul_f32 v[70:71], v[78:79], v[54:55] op_sel_hi:[1,0]
	s_waitcnt vmcnt(1)
	v_pk_mul_f32 v[60:61], v[60:61], v[80:81] op_sel_hi:[0,1]
	v_pk_fma_f32 v[110:111], v[46:47], v[78:79], v[70:71] op_sel:[0,0,1] op_sel_hi:[1,1,0] neg_lo:[0,0,1] neg_hi:[0,0,1]
	v_pk_fma_f32 v[70:71], v[46:47], v[78:79], v[70:71] op_sel:[0,0,1] op_sel_hi:[0,1,0]
	v_mov_b32_e32 v111, v71
	s_waitcnt lgkmcnt(1)
	v_pk_mul_f32 v[70:71], v[82:83], v[86:87] op_sel_hi:[1,0]
	v_mov_b32_e32 v46, v31
	v_pk_fma_f32 v[78:79], v[64:65], v[82:83], v[70:71] op_sel:[0,0,1] op_sel_hi:[1,1,0] neg_lo:[0,0,1] neg_hi:[0,0,1]
	v_pk_fma_f32 v[64:65], v[64:65], v[82:83], v[70:71] op_sel:[0,0,1] op_sel_hi:[0,1,0]
	v_mov_b32_e32 v79, v65
	v_pk_mul_f32 v[64:65], v[74:75], v[50:51] op_sel_hi:[1,0]
	v_pk_add_f32 v[114:115], v[112:113], v[110:111]
	v_pk_fma_f32 v[70:71], v[44:45], v[74:75], v[64:65] op_sel:[0,0,1] op_sel_hi:[1,1,0] neg_lo:[0,0,1] neg_hi:[0,0,1]
	v_pk_fma_f32 v[64:65], v[44:45], v[74:75], v[64:65] op_sel:[0,0,1] op_sel_hi:[0,1,0]
	v_mov_b32_e32 v71, v65
	v_pk_fma_f32 v[64:65], v[68:69], v[84:85], v[62:63] op_sel:[0,0,1] op_sel_hi:[1,1,0]
	v_pk_fma_f32 v[62:63], v[68:69], v[84:85], v[62:63] op_sel:[0,0,1] op_sel_hi:[1,0,0] neg_lo:[1,0,0] neg_hi:[1,0,0]
	v_mov_b32_e32 v44, v11
	v_mov_b32_e32 v65, v63
	s_waitcnt vmcnt(0)
	v_pk_mul_f32 v[62:63], v[44:45], v[96:97] op_sel_hi:[0,1]
	v_mov_b32_e32 v44, v31
	v_pk_fma_f32 v[68:69], v[96:97], v[44:45], v[62:63] op_sel:[0,0,1] op_sel_hi:[1,1,0]
	v_pk_fma_f32 v[62:63], v[96:97], v[46:47], v[62:63] op_sel:[0,0,1] op_sel_hi:[1,0,0] neg_lo:[1,0,0] neg_hi:[1,0,0]
	v_mov_b32_e32 v44, v19
	v_mov_b32_e32 v69, v63
	v_pk_mul_f32 v[62:63], v[44:45], v[76:77] op_sel_hi:[0,1]
	v_mov_b32_e32 v44, v35
	v_mov_b32_e32 v46, v35
	v_pk_fma_f32 v[74:75], v[76:77], v[44:45], v[62:63] op_sel:[0,0,1] op_sel_hi:[1,1,0]
	v_pk_fma_f32 v[62:63], v[76:77], v[46:47], v[62:63] op_sel:[0,0,1] op_sel_hi:[1,0,0] neg_lo:[1,0,0] neg_hi:[1,0,0]
	v_mov_b32_e32 v44, v15
	v_mov_b32_e32 v75, v63
	v_pk_mul_f32 v[62:63], v[44:45], v[72:73] op_sel_hi:[0,1]
	v_mov_b32_e32 v44, v39
	v_mov_b32_e32 v46, v39
	v_pk_fma_f32 v[76:77], v[72:73], v[44:45], v[62:63] op_sel:[0,0,1] op_sel_hi:[1,1,0]
	v_pk_fma_f32 v[62:63], v[72:73], v[46:47], v[62:63] op_sel:[0,0,1] op_sel_hi:[1,0,0] neg_lo:[1,0,0] neg_hi:[1,0,0]
	s_waitcnt lgkmcnt(0)
	v_pk_fma_f32 v[84:85], v[80:81], v[88:89], v[60:61] op_sel:[0,0,1] op_sel_hi:[1,1,0]
	v_mov_b32_e32 v77, v63
	v_pk_fma_f32 v[60:61], v[80:81], v[88:89], v[60:61] op_sel:[0,0,1] op_sel_hi:[1,0,0] neg_lo:[1,0,0] neg_hi:[1,0,0]
	v_pk_add_f32 v[124:125], v[74:75], v[64:65] neg_lo:[0,1] neg_hi:[0,1]
	v_mov_b32_e32 v85, v61
	v_pk_add_f32 v[60:61], v[74:75], v[76:77]
	v_pk_add_f32 v[126:127], v[76:77], v[68:69] neg_lo:[0,1] neg_hi:[0,1]
	v_pk_add_f32 v[62:63], v[64:65], v[74:75] neg_lo:[0,1] neg_hi:[0,1]
	;; [unrolled: 1-line block ×4, first 2 shown]
	v_pk_fma_f32 v[60:61], v[60:61], 0.5, v[84:85] op_sel_hi:[1,0,1] neg_lo:[1,0,0] neg_hi:[1,0,0]
	v_pk_add_f32 v[124:125], v[124:125], v[126:127]
	v_pk_add_f32 v[126:127], v[64:65], v[68:69]
	;; [unrolled: 1-line block ×3, first 2 shown]
	v_pk_add_f32 v[72:73], v[74:75], v[76:77] neg_lo:[0,1] neg_hi:[0,1]
	v_pk_fma_f32 v[80:81], v[82:83], s[2:3], v[60:61] op_sel:[1,0,0] op_sel_hi:[0,0,1]
	v_pk_fma_f32 v[60:61], v[82:83], s[2:3], v[60:61] op_sel:[1,0,0] op_sel_hi:[0,0,1] neg_lo:[1,0,0] neg_hi:[1,0,0]
	v_pk_fma_f32 v[126:127], v[126:127], 0.5, v[84:85] op_sel_hi:[1,0,1] neg_lo:[1,0,0] neg_hi:[1,0,0]
	v_pk_fma_f32 v[60:61], v[72:73], s[4:5], v[60:61] op_sel:[1,0,0] op_sel_hi:[0,0,1] neg_lo:[1,0,0] neg_hi:[1,0,0]
	v_pk_fma_f32 v[80:81], v[72:73], s[4:5], v[80:81] op_sel:[1,0,0] op_sel_hi:[0,0,1]
	v_pk_fma_f32 v[128:129], v[72:73], s[2:3], v[126:127] op_sel:[1,0,0] op_sel_hi:[0,0,1] neg_lo:[1,0,0] neg_hi:[1,0,0]
	v_pk_fma_f32 v[72:73], v[72:73], s[2:3], v[126:127] op_sel:[1,0,0] op_sel_hi:[0,0,1]
	v_pk_add_f32 v[88:89], v[78:79], v[70:71] neg_lo:[0,1] neg_hi:[0,1]
	v_pk_fma_f32 v[114:115], v[114:115], 0.5, v[52:53] op_sel_hi:[1,0,1] neg_lo:[1,0,0] neg_hi:[1,0,0]
	v_pk_add_f32 v[116:117], v[78:79], v[112:113] neg_lo:[0,1] neg_hi:[0,1]
	v_pk_add_f32 v[118:119], v[70:71], v[110:111] neg_lo:[0,1] neg_hi:[0,1]
	v_pk_fma_f32 v[72:73], v[82:83], s[4:5], v[72:73] op_sel:[1,0,0] op_sel_hi:[0,0,1] neg_lo:[1,0,0] neg_hi:[1,0,0]
	v_pk_fma_f32 v[82:83], v[82:83], s[4:5], v[128:129] op_sel:[1,0,0] op_sel_hi:[0,0,1]
	v_pk_add_f32 v[128:129], v[78:79], v[70:71]
	v_pk_add_f32 v[96:97], v[112:113], v[110:111] neg_lo:[0,1] neg_hi:[0,1]
	v_pk_add_f32 v[116:117], v[116:117], v[118:119]
	v_pk_fma_f32 v[118:119], v[88:89], s[2:3], v[114:115] op_sel:[1,0,0] op_sel_hi:[0,0,1] neg_lo:[1,0,0] neg_hi:[1,0,0]
	v_pk_fma_f32 v[114:115], v[88:89], s[2:3], v[114:115] op_sel:[1,0,0] op_sel_hi:[0,0,1]
	v_pk_fma_f32 v[128:129], v[128:129], 0.5, v[52:53] op_sel_hi:[1,0,1] neg_lo:[1,0,0] neg_hi:[1,0,0]
	v_pk_add_f32 v[130:131], v[112:113], v[78:79] neg_lo:[0,1] neg_hi:[0,1]
	v_pk_add_f32 v[132:133], v[110:111], v[70:71] neg_lo:[0,1] neg_hi:[0,1]
	v_pk_fma_f32 v[114:115], v[96:97], s[4:5], v[114:115] op_sel:[1,0,0] op_sel_hi:[0,0,1]
	v_pk_fma_f32 v[118:119], v[96:97], s[4:5], v[118:119] op_sel:[1,0,0] op_sel_hi:[0,0,1] neg_lo:[1,0,0] neg_hi:[1,0,0]
	v_mov_b32_e32 v127, v73
	v_pk_add_f32 v[130:131], v[130:131], v[132:133]
	v_pk_fma_f32 v[132:133], v[96:97], s[2:3], v[128:129] op_sel:[1,0,0] op_sel_hi:[0,0,1]
	v_pk_fma_f32 v[96:97], v[96:97], s[2:3], v[128:129] op_sel:[1,0,0] op_sel_hi:[0,0,1] neg_lo:[1,0,0] neg_hi:[1,0,0]
	v_mov_b32_e32 v73, v83
	v_mov_b32_e32 v87, v61
	v_pk_fma_f32 v[96:97], v[88:89], s[4:5], v[96:97] op_sel:[1,0,0] op_sel_hi:[0,0,1]
	v_pk_fma_f32 v[88:89], v[88:89], s[4:5], v[132:133] op_sel:[1,0,0] op_sel_hi:[0,0,1] neg_lo:[1,0,0] neg_hi:[1,0,0]
	s_mov_b32 s3, s12
	v_pk_fma_f32 v[72:73], v[124:125], s[0:1], v[72:73] op_sel_hi:[1,0,1]
	v_mov_b32_e32 v61, v81
	v_pk_add_f32 v[52:53], v[52:53], v[78:79]
	v_pk_add_f32 v[64:65], v[64:65], v[84:85]
	v_mov_b32_e32 v128, v88
	v_mov_b32_e32 v129, v97
	;; [unrolled: 1-line block ×3, first 2 shown]
	v_pk_mul_f32 v[88:89], v[72:73], s[2:3] op_sel_hi:[1,0]
	v_pk_fma_f32 v[60:61], v[62:63], s[0:1], v[60:61] op_sel_hi:[1,0,1]
	v_pk_add_f32 v[52:53], v[52:53], v[112:113]
	v_pk_add_f32 v[64:65], v[74:75], v[64:65]
	v_mov_b32_e32 v86, v80
	v_mov_b32_e32 v126, v82
	v_pk_fma_f32 v[82:83], v[130:131], s[0:1], v[96:97] op_sel_hi:[1,0,1]
	v_pk_fma_f32 v[96:97], v[72:73], s[0:1], v[88:89] op_sel:[0,0,1] op_sel_hi:[1,0,0]
	v_pk_mul_f32 v[80:81], v[60:61], s[4:5] op_sel_hi:[1,0]
	v_pk_add_f32 v[52:53], v[52:53], v[110:111]
	v_pk_add_f32 v[64:65], v[76:77], v[64:65]
	v_mov_b32_e32 v121, v115
	v_pk_fma_f32 v[72:73], v[72:73], s[0:1], v[88:89] op_sel:[0,0,1] op_sel_hi:[1,0,0] neg_lo:[0,0,1] neg_hi:[0,0,1]
	v_mov_b32_e32 v88, v97
	v_mov_b32_e32 v115, v119
	v_pk_fma_f32 v[96:97], v[60:61], s[8:9], v[80:81] op_sel:[0,0,1] op_sel_hi:[1,0,0]
	v_pk_fma_f32 v[60:61], v[60:61], s[8:9], v[80:81] op_sel:[0,0,1] op_sel_hi:[1,0,0] neg_lo:[0,0,1] neg_hi:[0,0,1]
	v_pk_add_f32 v[52:53], v[70:71], v[52:53]
	v_pk_add_f32 v[64:65], v[68:69], v[64:65]
	v_add_u32_e32 v11, 0x64, v158
	v_pk_fma_f32 v[86:87], v[62:63], s[0:1], v[86:87] op_sel_hi:[1,0,1]
	v_pk_fma_f32 v[126:127], v[124:125], s[0:1], v[126:127] op_sel_hi:[1,0,1]
	v_pk_fma_f32 v[62:63], v[116:117], s[0:1], v[114:115] op_sel_hi:[1,0,1]
	v_mov_b32_e32 v80, v97
	v_mov_b32_e32 v81, v60
	v_pk_add_f32 v[68:69], v[52:53], v[64:65] op_sel:[0,1] op_sel_hi:[1,0] neg_lo:[0,1] neg_hi:[0,1]
	v_pk_add_f32 v[52:53], v[52:53], v[64:65] op_sel:[0,1] op_sel_hi:[1,0]
	v_mul_hi_u32 v15, v11, s13
	v_pk_mul_f32 v[132:133], v[126:127], s[0:1] op_sel_hi:[1,0]
	v_mov_b32_e32 v89, v72
	global_store_dwordx2 v[66:67], v[52:53], off
	v_pk_add_f32 v[52:53], v[62:63], v[80:81]
	v_lshrrev_b32_e32 v15, 5, v15
	v_mov_b32_e32 v120, v118
	v_pk_mul_f32 v[122:123], v[86:87], s[8:9] op_sel_hi:[1,0]
	v_pk_fma_f32 v[128:129], v[130:131], s[0:1], v[128:129] op_sel_hi:[1,0,1]
	v_pk_fma_f32 v[126:127], v[126:127], s[2:3], v[132:133] op_sel:[0,0,1] op_sel_hi:[1,1,0] neg_lo:[0,0,1] neg_hi:[0,0,1]
	global_store_dwordx2 v[90:91], v[52:53], off
	v_pk_add_f32 v[52:53], v[82:83], v[88:89]
	v_mul_u32_u24_e32 v19, 0x12c, v15
	v_pk_fma_f32 v[120:121], v[116:117], s[0:1], v[120:121] op_sel_hi:[1,0,1]
	v_pk_fma_f32 v[86:87], v[86:87], s[6:7], v[122:123] op_sel:[0,0,1] op_sel_hi:[1,1,0] neg_lo:[0,0,1] neg_hi:[0,0,1]
	global_store_dwordx2 v[92:93], v[52:53], off
	v_pk_add_f32 v[52:53], v[128:129], v[126:127]
	v_sub_u32_e32 v11, v11, v19
	s_movk_i32 s5, 0xbb8
	global_store_dwordx2 v[94:95], v[52:53], off
	v_pk_add_f32 v[52:53], v[120:121], v[86:87]
	v_mad_u32_u24 v11, v15, s5, v11
	v_lshl_add_u64 v[106:107], v[106:107], 3, v[36:37]
	v_lshl_add_u64 v[108:109], v[108:109], 3, v[36:37]
	v_pk_add_f32 v[122:123], v[120:121], v[86:87] neg_lo:[0,1] neg_hi:[0,1]
	v_pk_add_f32 v[132:133], v[128:129], v[126:127] neg_lo:[0,1] neg_hi:[0,1]
	;; [unrolled: 1-line block ×4, first 2 shown]
	global_store_dwordx2 v[98:99], v[52:53], off
	global_store_dwordx2 v[100:101], v[68:69], off
	;; [unrolled: 1-line block ×6, first 2 shown]
	v_mad_u64_u32 v[52:53], s[10:11], s16, v11, 0
	v_mov_b32_e32 v44, v53
	v_mad_u64_u32 v[60:61], s[10:11], s17, v11, v[44:45]
	v_mov_b32_e32 v53, v60
	global_load_dwordx4 v[60:63], v[58:59], off offset:2336
	v_add_u32_e32 v15, 0x12c, v11
	v_mad_u64_u32 v[72:73], s[10:11], s16, v15, 0
	v_mov_b32_e32 v44, v73
	global_load_dwordx4 v[64:67], v[58:59], off offset:2368
	global_load_dwordx4 v[68:71], v[58:59], off offset:2352
	v_mad_u64_u32 v[74:75], s[10:11], s17, v15, v[44:45]
	v_mov_b32_e32 v73, v74
	v_lshl_add_u64 v[76:77], v[72:73], 3, v[36:37]
	global_load_dwordx4 v[72:75], v[58:59], off offset:2320
	v_add_u32_e32 v15, 0x258, v11
	global_load_dwordx2 v[58:59], v[58:59], off offset:2384
	v_mad_u64_u32 v[78:79], s[10:11], s16, v15, 0
	v_mov_b32_e32 v44, v79
	v_mad_u64_u32 v[80:81], s[10:11], s17, v15, v[44:45]
	v_add_u32_e32 v15, 0x384, v11
	v_mov_b32_e32 v79, v80
	v_mad_u64_u32 v[80:81], s[10:11], s16, v15, 0
	v_mov_b32_e32 v44, v81
	v_mad_u64_u32 v[82:83], s[10:11], s17, v15, v[44:45]
	v_add_u32_e32 v15, 0x4b0, v11
	v_mov_b32_e32 v81, v82
	;; [unrolled: 5-line block ×7, first 2 shown]
	v_mad_u64_u32 v[92:93], s[10:11], s16, v11, 0
	v_mov_b32_e32 v44, v93
	v_mov_b32_e32 v48, v57
	v_mad_u64_u32 v[94:95], s[10:11], s17, v11, v[44:45]
	v_mov_b32_e32 v44, v49
	v_mov_b32_e32 v46, v49
	;; [unrolled: 1-line block ×3, first 2 shown]
	v_lshl_add_u64 v[52:53], v[52:53], 3, v[36:37]
	v_lshl_add_u64 v[78:79], v[78:79], 3, v[36:37]
	;; [unrolled: 1-line block ×9, first 2 shown]
	s_waitcnt vmcnt(4)
	v_pk_mul_f32 v[48:49], v[62:63], v[48:49] op_sel_hi:[1,0]
	s_nop 0
	v_pk_fma_f32 v[56:57], v[44:45], v[62:63], v[48:49] op_sel:[0,0,1] op_sel_hi:[1,1,0] neg_lo:[0,0,1] neg_hi:[0,0,1]
	v_pk_fma_f32 v[48:49], v[46:47], v[62:63], v[48:49] op_sel:[0,0,1] op_sel_hi:[0,1,0]
	v_mov_b32_e32 v48, v55
	v_mov_b32_e32 v57, v49
	;; [unrolled: 1-line block ×4, first 2 shown]
	s_waitcnt vmcnt(2)
	v_pk_mul_f32 v[48:49], v[70:71], v[48:49] op_sel_hi:[1,0]
	s_nop 0
	v_pk_fma_f32 v[54:55], v[44:45], v[70:71], v[48:49] op_sel:[0,0,1] op_sel_hi:[1,1,0] neg_lo:[0,0,1] neg_hi:[0,0,1]
	v_pk_fma_f32 v[46:47], v[46:47], v[70:71], v[48:49] op_sel:[0,0,1] op_sel_hi:[0,1,0]
	v_mov_b32_e32 v55, v47
	s_waitcnt vmcnt(1)
	v_pk_mul_f32 v[46:47], v[74:75], v[26:27] op_sel_hi:[1,0]
	v_mov_b32_e32 v44, v51
	v_pk_fma_f32 v[48:49], v[16:17], v[74:75], v[46:47] op_sel:[0,0,1] op_sel_hi:[1,1,0] neg_lo:[0,0,1] neg_hi:[0,0,1]
	v_pk_fma_f32 v[46:47], v[16:17], v[74:75], v[46:47] op_sel:[0,0,1] op_sel_hi:[0,1,0]
	v_mov_b32_e32 v16, v45
	v_mov_b32_e32 v26, v45
	v_pk_mul_f32 v[44:45], v[66:67], v[44:45] op_sel_hi:[1,0]
	v_mov_b32_e32 v49, v47
	v_pk_fma_f32 v[46:47], v[16:17], v[66:67], v[44:45] op_sel:[0,0,1] op_sel_hi:[1,1,0] neg_lo:[0,0,1] neg_hi:[0,0,1]
	v_pk_fma_f32 v[44:45], v[26:27], v[66:67], v[44:45] op_sel:[0,0,1] op_sel_hi:[0,1,0]
	v_mov_b32_e32 v47, v45
	v_pk_mul_f32 v[44:45], v[12:13], v[60:61] op_sel_hi:[0,1]
	v_pk_fma_f32 v[50:51], v[60:61], v[32:33], v[44:45] op_sel:[0,0,1] op_sel_hi:[1,1,0]
	v_pk_fma_f32 v[44:45], v[60:61], v[32:33], v[44:45] op_sel:[0,0,1] op_sel_hi:[1,0,0] neg_lo:[1,0,0] neg_hi:[1,0,0]
	v_pk_add_f32 v[98:99], v[56:57], v[54:55]
	v_mov_b32_e32 v51, v45
	s_waitcnt vmcnt(0)
	v_pk_mul_f32 v[44:45], v[8:9], v[58:59] op_sel_hi:[0,1]
	v_pk_fma_f32 v[60:61], v[58:59], v[28:29], v[44:45] op_sel:[0,0,1] op_sel_hi:[1,1,0]
	v_pk_fma_f32 v[44:45], v[58:59], v[28:29], v[44:45] op_sel:[0,0,1] op_sel_hi:[1,0,0] neg_lo:[1,0,0] neg_hi:[1,0,0]
	v_pk_add_f32 v[94:95], v[48:49], v[46:47] neg_lo:[0,1] neg_hi:[0,1]
	v_mov_b32_e32 v61, v45
	v_pk_mul_f32 v[44:45], v[6:7], v[68:69] op_sel_hi:[0,1]
	v_pk_fma_f32 v[58:59], v[68:69], v[24:25], v[44:45] op_sel:[0,0,1] op_sel_hi:[1,1,0]
	v_pk_fma_f32 v[44:45], v[68:69], v[24:25], v[44:45] op_sel:[0,0,1] op_sel_hi:[1,0,0] neg_lo:[1,0,0] neg_hi:[1,0,0]
	v_pk_mul_f32 v[68:69], v[2:3], v[72:73] op_sel_hi:[0,1]
	v_mov_b32_e32 v59, v45
	v_pk_mul_f32 v[44:45], v[4:5], v[64:65] op_sel_hi:[0,1]
	v_pk_fma_f32 v[62:63], v[64:65], v[22:23], v[44:45] op_sel:[0,0,1] op_sel_hi:[1,1,0]
	v_pk_fma_f32 v[44:45], v[64:65], v[22:23], v[44:45] op_sel:[0,0,1] op_sel_hi:[1,0,0] neg_lo:[1,0,0] neg_hi:[1,0,0]
	v_pk_fma_f32 v[70:71], v[72:73], v[20:21], v[68:69] op_sel:[0,0,1] op_sel_hi:[1,1,0]
	v_mov_b32_e32 v63, v45
	v_pk_fma_f32 v[68:69], v[72:73], v[20:21], v[68:69] op_sel:[0,0,1] op_sel_hi:[1,0,0] neg_lo:[1,0,0] neg_hi:[1,0,0]
	v_pk_add_f32 v[108:109], v[58:59], v[50:51] neg_lo:[0,1] neg_hi:[0,1]
	v_mov_b32_e32 v71, v69
	v_pk_add_f32 v[68:69], v[58:59], v[62:63]
	v_pk_add_f32 v[110:111], v[62:63], v[60:61] neg_lo:[0,1] neg_hi:[0,1]
	v_pk_add_f32 v[44:45], v[50:51], v[58:59] neg_lo:[0,1] neg_hi:[0,1]
	v_pk_add_f32 v[64:65], v[60:61], v[62:63] neg_lo:[0,1] neg_hi:[0,1]
	v_pk_add_f32 v[66:67], v[50:51], v[60:61] neg_lo:[0,1] neg_hi:[0,1]
	v_pk_fma_f32 v[68:69], v[68:69], 0.5, v[70:71] op_sel_hi:[1,0,1] neg_lo:[1,0,0] neg_hi:[1,0,0]
	v_pk_add_f32 v[108:109], v[108:109], v[110:111]
	v_pk_add_f32 v[110:111], v[50:51], v[60:61]
	;; [unrolled: 1-line block ×3, first 2 shown]
	v_pk_add_f32 v[64:65], v[58:59], v[62:63] neg_lo:[0,1] neg_hi:[0,1]
	v_pk_fma_f32 v[72:73], v[66:67], s[2:3], v[68:69] op_sel:[1,0,0] op_sel_hi:[0,0,1]
	v_pk_fma_f32 v[68:69], v[66:67], s[2:3], v[68:69] op_sel:[1,0,0] op_sel_hi:[0,0,1] neg_lo:[1,0,0] neg_hi:[1,0,0]
	v_pk_fma_f32 v[110:111], v[110:111], 0.5, v[70:71] op_sel_hi:[1,0,1] neg_lo:[1,0,0] neg_hi:[1,0,0]
	v_pk_fma_f32 v[68:69], v[64:65], s[4:5], v[68:69] op_sel:[1,0,0] op_sel_hi:[0,0,1] neg_lo:[1,0,0] neg_hi:[1,0,0]
	v_pk_fma_f32 v[72:73], v[64:65], s[4:5], v[72:73] op_sel:[1,0,0] op_sel_hi:[0,0,1]
	v_pk_fma_f32 v[112:113], v[64:65], s[2:3], v[110:111] op_sel:[1,0,0] op_sel_hi:[0,0,1] neg_lo:[1,0,0] neg_hi:[1,0,0]
	v_pk_fma_f32 v[64:65], v[64:65], s[2:3], v[110:111] op_sel:[1,0,0] op_sel_hi:[0,0,1]
	;; [unrolled: 2-line block ×3, first 2 shown]
	v_pk_add_f32 v[112:113], v[48:49], v[46:47]
	v_pk_fma_f32 v[98:99], v[98:99], 0.5, v[40:41] op_sel_hi:[1,0,1] neg_lo:[1,0,0] neg_hi:[1,0,0]
	v_pk_add_f32 v[100:101], v[48:49], v[56:57] neg_lo:[0,1] neg_hi:[0,1]
	v_pk_add_f32 v[102:103], v[46:47], v[54:55] neg_lo:[0,1] neg_hi:[0,1]
	v_pk_fma_f32 v[112:113], v[112:113], 0.5, v[40:41] op_sel_hi:[1,0,1] neg_lo:[1,0,0] neg_hi:[1,0,0]
	v_pk_add_f32 v[40:41], v[40:41], v[48:49]
	v_pk_add_f32 v[96:97], v[56:57], v[54:55] neg_lo:[0,1] neg_hi:[0,1]
	v_pk_add_f32 v[100:101], v[100:101], v[102:103]
	v_pk_fma_f32 v[102:103], v[94:95], s[2:3], v[98:99] op_sel:[1,0,0] op_sel_hi:[0,0,1] neg_lo:[1,0,0] neg_hi:[1,0,0]
	v_pk_fma_f32 v[98:99], v[94:95], s[2:3], v[98:99] op_sel:[1,0,0] op_sel_hi:[0,0,1]
	v_pk_add_f32 v[114:115], v[56:57], v[48:49] neg_lo:[0,1] neg_hi:[0,1]
	v_pk_add_f32 v[116:117], v[54:55], v[46:47] neg_lo:[0,1] neg_hi:[0,1]
	v_pk_add_f32 v[40:41], v[40:41], v[56:57]
	v_pk_fma_f32 v[98:99], v[96:97], s[4:5], v[98:99] op_sel:[1,0,0] op_sel_hi:[0,0,1]
	v_pk_fma_f32 v[102:103], v[96:97], s[4:5], v[102:103] op_sel:[1,0,0] op_sel_hi:[0,0,1] neg_lo:[1,0,0] neg_hi:[1,0,0]
	v_mov_b32_e32 v111, v65
	v_pk_add_f32 v[114:115], v[114:115], v[116:117]
	v_pk_fma_f32 v[116:117], v[96:97], s[2:3], v[112:113] op_sel:[1,0,0] op_sel_hi:[0,0,1]
	v_pk_fma_f32 v[96:97], v[96:97], s[2:3], v[112:113] op_sel:[1,0,0] op_sel_hi:[0,0,1] neg_lo:[1,0,0] neg_hi:[1,0,0]
	v_mov_b32_e32 v65, v67
	v_pk_add_f32 v[40:41], v[40:41], v[54:55]
	v_mov_b32_e32 v74, v72
	v_mov_b32_e32 v75, v69
	v_pk_fma_f32 v[96:97], v[94:95], s[4:5], v[96:97] op_sel:[1,0,0] op_sel_hi:[0,0,1]
	v_pk_fma_f32 v[94:95], v[94:95], s[4:5], v[116:117] op_sel:[1,0,0] op_sel_hi:[0,0,1] neg_lo:[1,0,0] neg_hi:[1,0,0]
	v_pk_fma_f32 v[64:65], v[108:109], s[0:1], v[64:65] op_sel_hi:[1,0,1]
	v_mov_b32_e32 v69, v73
	v_pk_add_f32 v[40:41], v[46:47], v[40:41]
	v_pk_add_f32 v[46:47], v[50:51], v[70:71]
	v_pk_fma_f32 v[74:75], v[44:45], s[0:1], v[74:75] op_sel_hi:[1,0,1]
	v_mov_b32_e32 v112, v94
	v_mov_b32_e32 v113, v97
	;; [unrolled: 1-line block ×3, first 2 shown]
	v_pk_mul_f32 v[94:95], v[64:65], s[2:3] op_sel_hi:[1,0]
	v_pk_fma_f32 v[44:45], v[44:45], s[0:1], v[68:69] op_sel_hi:[1,0,1]
	v_pk_add_f32 v[46:47], v[58:59], v[46:47]
	v_mov_b32_e32 v110, v66
	v_pk_fma_f32 v[66:67], v[114:115], s[0:1], v[96:97] op_sel_hi:[1,0,1]
	v_pk_fma_f32 v[96:97], v[64:65], s[0:1], v[94:95] op_sel:[0,0,1] op_sel_hi:[1,0,0]
	v_pk_mul_f32 v[72:73], v[44:45], s[4:5] op_sel_hi:[1,0]
	v_pk_add_f32 v[46:47], v[62:63], v[46:47]
	v_mov_b32_e32 v105, v99
	v_pk_fma_f32 v[64:65], v[64:65], s[0:1], v[94:95] op_sel:[0,0,1] op_sel_hi:[1,0,0] neg_lo:[0,0,1] neg_hi:[0,0,1]
	v_mov_b32_e32 v94, v97
	v_mov_b32_e32 v99, v103
	v_pk_fma_f32 v[96:97], v[44:45], s[8:9], v[72:73] op_sel:[0,0,1] op_sel_hi:[1,0,0]
	v_pk_fma_f32 v[44:45], v[44:45], s[8:9], v[72:73] op_sel:[0,0,1] op_sel_hi:[1,0,0] neg_lo:[0,0,1] neg_hi:[0,0,1]
	v_pk_add_f32 v[46:47], v[60:61], v[46:47]
	v_add_u32_e32 v2, 0xc8, v158
	v_pk_fma_f32 v[110:111], v[108:109], s[0:1], v[110:111] op_sel_hi:[1,0,1]
	v_pk_fma_f32 v[68:69], v[100:101], s[0:1], v[98:99] op_sel_hi:[1,0,1]
	v_mov_b32_e32 v72, v97
	v_mov_b32_e32 v73, v44
	v_pk_add_f32 v[48:49], v[40:41], v[46:47] op_sel:[0,1] op_sel_hi:[1,0] neg_lo:[0,1] neg_hi:[0,1]
	v_pk_add_f32 v[40:41], v[40:41], v[46:47] op_sel:[0,1] op_sel_hi:[1,0]
	v_mul_hi_u32 v4, v2, s13
	v_pk_mul_f32 v[116:117], v[110:111], s[0:1] op_sel_hi:[1,0]
	v_mov_b32_e32 v95, v64
	global_store_dwordx2 v[52:53], v[40:41], off
	v_pk_add_f32 v[40:41], v[68:69], v[72:73]
	v_lshrrev_b32_e32 v4, 5, v4
	v_mov_b32_e32 v104, v102
	v_pk_mul_f32 v[106:107], v[74:75], s[8:9] op_sel_hi:[1,0]
	v_pk_fma_f32 v[112:113], v[114:115], s[0:1], v[112:113] op_sel_hi:[1,0,1]
	v_pk_fma_f32 v[110:111], v[110:111], s[2:3], v[116:117] op_sel:[0,0,1] op_sel_hi:[1,1,0] neg_lo:[0,0,1] neg_hi:[0,0,1]
	global_store_dwordx2 v[76:77], v[40:41], off
	v_pk_add_f32 v[40:41], v[66:67], v[94:95]
	v_mul_u32_u24_e32 v6, 0x12c, v4
	v_pk_fma_f32 v[104:105], v[100:101], s[0:1], v[104:105] op_sel_hi:[1,0,1]
	v_pk_fma_f32 v[74:75], v[74:75], s[6:7], v[106:107] op_sel:[0,0,1] op_sel_hi:[1,1,0] neg_lo:[0,0,1] neg_hi:[0,0,1]
	global_store_dwordx2 v[78:79], v[40:41], off
	v_pk_add_f32 v[40:41], v[112:113], v[110:111]
	v_sub_u32_e32 v2, v2, v6
	global_store_dwordx2 v[80:81], v[40:41], off
	v_pk_add_f32 v[40:41], v[104:105], v[74:75]
	v_mad_u32_u24 v4, v4, s5, v2
	v_pk_add_f32 v[106:107], v[104:105], v[74:75] neg_lo:[0,1] neg_hi:[0,1]
	v_pk_add_f32 v[116:117], v[112:113], v[110:111] neg_lo:[0,1] neg_hi:[0,1]
	;; [unrolled: 1-line block ×4, first 2 shown]
	global_store_dwordx2 v[82:83], v[40:41], off
	global_store_dwordx2 v[84:85], v[48:49], off
	;; [unrolled: 1-line block ×6, first 2 shown]
	v_mad_u64_u32 v[40:41], s[10:11], s16, v4, 0
	v_mov_b32_e32 v2, v41
	global_load_dwordx4 v[44:47], v[42:43], off offset:2336
	v_mad_u64_u32 v[48:49], s[10:11], s17, v4, v[2:3]
	v_mov_b32_e32 v41, v48
	global_load_dwordx4 v[48:51], v[42:43], off offset:2368
	global_load_dwordx4 v[52:55], v[42:43], off offset:2352
	;; [unrolled: 1-line block ×3, first 2 shown]
	v_add_u32_e32 v6, 0x12c, v4
	global_load_dwordx2 v[42:43], v[42:43], off offset:2384
	v_mad_u64_u32 v[60:61], s[10:11], s16, v6, 0
	v_mov_b32_e32 v2, v61
	v_mad_u64_u32 v[62:63], s[10:11], s17, v6, v[2:3]
	v_add_u32_e32 v6, 0x258, v4
	v_mov_b32_e32 v61, v62
	v_mad_u64_u32 v[62:63], s[10:11], s16, v6, 0
	v_mov_b32_e32 v2, v63
	v_mad_u64_u32 v[64:65], s[10:11], s17, v6, v[2:3]
	v_add_u32_e32 v6, 0x384, v4
	v_mov_b32_e32 v63, v64
	;; [unrolled: 5-line block ×8, first 2 shown]
	v_mad_u64_u32 v[76:77], s[10:11], s16, v4, 0
	v_mov_b32_e32 v2, v77
	v_mad_u64_u32 v[78:79], s[10:11], s17, v4, v[2:3]
	v_mov_b32_e32 v77, v78
	v_lshl_add_u64 v[40:41], v[40:41], 3, v[36:37]
	v_lshl_add_u64 v[60:61], v[60:61], 3, v[36:37]
	v_lshl_add_u64 v[62:63], v[62:63], 3, v[36:37]
	v_lshl_add_u64 v[64:65], v[64:65], 3, v[36:37]
	v_lshl_add_u64 v[66:67], v[66:67], 3, v[36:37]
	v_lshl_add_u64 v[68:69], v[68:69], 3, v[36:37]
	v_lshl_add_u64 v[70:71], v[70:71], 3, v[36:37]
	v_lshl_add_u64 v[72:73], v[72:73], 3, v[36:37]
	v_lshl_add_u64 v[74:75], v[74:75], 3, v[36:37]
	v_lshl_add_u64 v[36:37], v[76:77], 3, v[36:37]
	s_waitcnt vmcnt(4)
	v_pk_mul_f32 v[34:35], v[46:47], v[34:35] op_sel_hi:[1,0]
	v_mov_b32_e32 v6, v27
	v_pk_fma_f32 v[76:77], v[18:19], v[46:47], v[34:35] op_sel:[0,0,1] op_sel_hi:[1,1,0] neg_lo:[0,0,1] neg_hi:[0,0,1]
	v_pk_fma_f32 v[18:19], v[18:19], v[46:47], v[34:35] op_sel:[0,0,1] op_sel_hi:[0,1,0]
	v_mov_b32_e32 v77, v19
	s_waitcnt vmcnt(2)
	v_pk_mul_f32 v[18:19], v[54:55], v[38:39] op_sel_hi:[1,0]
	v_mov_b32_e32 v2, v17
	v_pk_fma_f32 v[34:35], v[14:15], v[54:55], v[18:19] op_sel:[0,0,1] op_sel_hi:[1,1,0] neg_lo:[0,0,1] neg_hi:[0,0,1]
	v_pk_fma_f32 v[14:15], v[14:15], v[54:55], v[18:19] op_sel:[0,0,1] op_sel_hi:[0,1,0]
	v_mov_b32_e32 v35, v15
	v_mov_b32_e32 v4, v17
	s_waitcnt vmcnt(1)
	v_pk_mul_f32 v[14:15], v[58:59], v[6:7] op_sel_hi:[1,0]
	v_mov_b32_e32 v20, v21
	v_pk_fma_f32 v[16:17], v[2:3], v[58:59], v[14:15] op_sel:[0,0,1] op_sel_hi:[1,1,0] neg_lo:[0,0,1] neg_hi:[0,0,1]
	v_pk_fma_f32 v[14:15], v[4:5], v[58:59], v[14:15] op_sel:[0,0,1] op_sel_hi:[0,1,0]
	v_mov_b32_e32 v17, v15
	v_pk_mul_f32 v[14:15], v[50:51], v[30:31] op_sel_hi:[1,0]
	v_mov_b32_e32 v2, v13
	v_pk_fma_f32 v[18:19], v[10:11], v[50:51], v[14:15] op_sel:[0,0,1] op_sel_hi:[1,1,0] neg_lo:[0,0,1] neg_hi:[0,0,1]
	v_pk_fma_f32 v[10:11], v[10:11], v[50:51], v[14:15] op_sel:[0,0,1] op_sel_hi:[0,1,0]
	v_mov_b32_e32 v19, v11
	v_pk_mul_f32 v[10:11], v[2:3], v[44:45] op_sel_hi:[0,1]
	v_mov_b32_e32 v2, v33
	v_mov_b32_e32 v4, v33
	v_pk_fma_f32 v[12:13], v[44:45], v[2:3], v[10:11] op_sel:[0,0,1] op_sel_hi:[1,1,0]
	v_mov_b32_e32 v2, v9
	v_pk_fma_f32 v[10:11], v[44:45], v[4:5], v[10:11] op_sel:[0,0,1] op_sel_hi:[1,0,0] neg_lo:[1,0,0] neg_hi:[1,0,0]
	s_waitcnt vmcnt(0)
	v_pk_mul_f32 v[8:9], v[2:3], v[42:43] op_sel_hi:[0,1]
	v_mov_b32_e32 v2, v29
	v_mov_b32_e32 v13, v11
	;; [unrolled: 1-line block ×3, first 2 shown]
	v_pk_fma_f32 v[10:11], v[42:43], v[2:3], v[8:9] op_sel:[0,0,1] op_sel_hi:[1,1,0]
	v_mov_b32_e32 v2, v7
	v_pk_fma_f32 v[8:9], v[42:43], v[4:5], v[8:9] op_sel:[0,0,1] op_sel_hi:[1,0,0] neg_lo:[1,0,0] neg_hi:[1,0,0]
	v_pk_mul_f32 v[6:7], v[2:3], v[52:53] op_sel_hi:[0,1]
	v_mov_b32_e32 v2, v25
	v_mov_b32_e32 v11, v9
	;; [unrolled: 1-line block ×3, first 2 shown]
	v_pk_fma_f32 v[8:9], v[52:53], v[2:3], v[6:7] op_sel:[0,0,1] op_sel_hi:[1,1,0]
	v_mov_b32_e32 v2, v5
	v_pk_fma_f32 v[6:7], v[52:53], v[4:5], v[6:7] op_sel:[0,0,1] op_sel_hi:[1,0,0] neg_lo:[1,0,0] neg_hi:[1,0,0]
	v_pk_mul_f32 v[4:5], v[2:3], v[48:49] op_sel_hi:[0,1]
	v_mov_b32_e32 v2, v23
	v_mov_b32_e32 v6, v23
	v_pk_fma_f32 v[14:15], v[48:49], v[2:3], v[4:5] op_sel:[0,0,1] op_sel_hi:[1,1,0]
	v_mov_b32_e32 v2, v3
	v_pk_fma_f32 v[4:5], v[48:49], v[6:7], v[4:5] op_sel:[0,0,1] op_sel_hi:[1,0,0] neg_lo:[1,0,0] neg_hi:[1,0,0]
	v_pk_mul_f32 v[2:3], v[2:3], v[56:57] op_sel_hi:[0,1]
	v_mov_b32_e32 v24, v21
	v_mov_b32_e32 v9, v7
	;; [unrolled: 1-line block ×3, first 2 shown]
	v_pk_fma_f32 v[20:21], v[56:57], v[20:21], v[2:3] op_sel:[0,0,1] op_sel_hi:[1,1,0]
	v_pk_fma_f32 v[2:3], v[56:57], v[24:25], v[2:3] op_sel:[0,0,1] op_sel_hi:[1,0,0] neg_lo:[1,0,0] neg_hi:[1,0,0]
	v_pk_add_f32 v[48:49], v[8:9], v[12:13] neg_lo:[0,1] neg_hi:[0,1]
	v_mov_b32_e32 v21, v3
	v_pk_add_f32 v[2:3], v[8:9], v[14:15]
	v_pk_add_f32 v[50:51], v[14:15], v[10:11] neg_lo:[0,1] neg_hi:[0,1]
	v_pk_add_f32 v[4:5], v[12:13], v[8:9] neg_lo:[0,1] neg_hi:[0,1]
	;; [unrolled: 1-line block ×4, first 2 shown]
	v_pk_fma_f32 v[2:3], v[2:3], 0.5, v[20:21] op_sel_hi:[1,0,1] neg_lo:[1,0,0] neg_hi:[1,0,0]
	v_pk_add_f32 v[48:49], v[48:49], v[50:51]
	v_pk_add_f32 v[50:51], v[12:13], v[10:11]
	;; [unrolled: 1-line block ×3, first 2 shown]
	v_pk_add_f32 v[6:7], v[8:9], v[14:15] neg_lo:[0,1] neg_hi:[0,1]
	v_pk_fma_f32 v[24:25], v[22:23], s[2:3], v[2:3] op_sel:[1,0,0] op_sel_hi:[0,0,1]
	v_pk_fma_f32 v[2:3], v[22:23], s[2:3], v[2:3] op_sel:[1,0,0] op_sel_hi:[0,0,1] neg_lo:[1,0,0] neg_hi:[1,0,0]
	v_pk_fma_f32 v[50:51], v[50:51], 0.5, v[20:21] op_sel_hi:[1,0,1] neg_lo:[1,0,0] neg_hi:[1,0,0]
	v_pk_fma_f32 v[2:3], v[6:7], s[4:5], v[2:3] op_sel:[1,0,0] op_sel_hi:[0,0,1] neg_lo:[1,0,0] neg_hi:[1,0,0]
	v_pk_fma_f32 v[24:25], v[6:7], s[4:5], v[24:25] op_sel:[1,0,0] op_sel_hi:[0,0,1]
	v_pk_add_f32 v[32:33], v[76:77], v[34:35]
	v_pk_fma_f32 v[52:53], v[6:7], s[2:3], v[50:51] op_sel:[1,0,0] op_sel_hi:[0,0,1] neg_lo:[1,0,0] neg_hi:[1,0,0]
	v_pk_fma_f32 v[6:7], v[6:7], s[2:3], v[50:51] op_sel:[1,0,0] op_sel_hi:[0,0,1]
	v_pk_add_f32 v[28:29], v[16:17], v[18:19] neg_lo:[0,1] neg_hi:[0,1]
	v_pk_fma_f32 v[32:33], v[32:33], 0.5, v[0:1] op_sel_hi:[1,0,1] neg_lo:[1,0,0] neg_hi:[1,0,0]
	v_pk_add_f32 v[38:39], v[16:17], v[76:77] neg_lo:[0,1] neg_hi:[0,1]
	v_pk_add_f32 v[42:43], v[18:19], v[34:35] neg_lo:[0,1] neg_hi:[0,1]
	v_pk_fma_f32 v[6:7], v[22:23], s[4:5], v[6:7] op_sel:[1,0,0] op_sel_hi:[0,0,1] neg_lo:[1,0,0] neg_hi:[1,0,0]
	v_pk_fma_f32 v[22:23], v[22:23], s[4:5], v[52:53] op_sel:[1,0,0] op_sel_hi:[0,0,1]
	v_pk_add_f32 v[52:53], v[16:17], v[18:19]
	v_pk_add_f32 v[30:31], v[76:77], v[34:35] neg_lo:[0,1] neg_hi:[0,1]
	v_pk_add_f32 v[38:39], v[38:39], v[42:43]
	v_pk_fma_f32 v[42:43], v[28:29], s[2:3], v[32:33] op_sel:[1,0,0] op_sel_hi:[0,0,1] neg_lo:[1,0,0] neg_hi:[1,0,0]
	v_pk_fma_f32 v[32:33], v[28:29], s[2:3], v[32:33] op_sel:[1,0,0] op_sel_hi:[0,0,1]
	v_pk_fma_f32 v[52:53], v[52:53], 0.5, v[0:1] op_sel_hi:[1,0,1] neg_lo:[1,0,0] neg_hi:[1,0,0]
	v_pk_add_f32 v[54:55], v[76:77], v[16:17] neg_lo:[0,1] neg_hi:[0,1]
	v_pk_add_f32 v[56:57], v[34:35], v[18:19] neg_lo:[0,1] neg_hi:[0,1]
	v_pk_fma_f32 v[32:33], v[30:31], s[4:5], v[32:33] op_sel:[1,0,0] op_sel_hi:[0,0,1]
	v_pk_fma_f32 v[42:43], v[30:31], s[4:5], v[42:43] op_sel:[1,0,0] op_sel_hi:[0,0,1] neg_lo:[1,0,0] neg_hi:[1,0,0]
	v_mov_b32_e32 v51, v7
	v_pk_add_f32 v[54:55], v[54:55], v[56:57]
	v_pk_fma_f32 v[56:57], v[30:31], s[2:3], v[52:53] op_sel:[1,0,0] op_sel_hi:[0,0,1]
	v_pk_fma_f32 v[30:31], v[30:31], s[2:3], v[52:53] op_sel:[1,0,0] op_sel_hi:[0,0,1] neg_lo:[1,0,0] neg_hi:[1,0,0]
	v_mov_b32_e32 v7, v23
	v_mov_b32_e32 v27, v3
	v_pk_fma_f32 v[30:31], v[28:29], s[4:5], v[30:31] op_sel:[1,0,0] op_sel_hi:[0,0,1]
	v_pk_fma_f32 v[28:29], v[28:29], s[4:5], v[56:57] op_sel:[1,0,0] op_sel_hi:[0,0,1] neg_lo:[1,0,0] neg_hi:[1,0,0]
	v_pk_fma_f32 v[6:7], v[48:49], s[0:1], v[6:7] op_sel_hi:[1,0,1]
	v_mov_b32_e32 v3, v25
	v_pk_add_f32 v[0:1], v[0:1], v[16:17]
	v_pk_add_f32 v[12:13], v[12:13], v[20:21]
	v_mov_b32_e32 v52, v28
	v_mov_b32_e32 v53, v31
	v_mov_b32_e32 v31, v29
	v_pk_mul_f32 v[28:29], v[6:7], s[2:3] op_sel_hi:[1,0]
	v_pk_fma_f32 v[2:3], v[4:5], s[0:1], v[2:3] op_sel_hi:[1,0,1]
	v_pk_add_f32 v[0:1], v[0:1], v[76:77]
	v_pk_add_f32 v[8:9], v[8:9], v[12:13]
	v_mov_b32_e32 v26, v24
	v_mov_b32_e32 v50, v22
	v_pk_fma_f32 v[22:23], v[54:55], s[0:1], v[30:31] op_sel_hi:[1,0,1]
	v_pk_fma_f32 v[30:31], v[6:7], s[0:1], v[28:29] op_sel:[0,0,1] op_sel_hi:[1,0,0]
	v_pk_mul_f32 v[24:25], v[2:3], s[4:5] op_sel_hi:[1,0]
	v_pk_add_f32 v[0:1], v[0:1], v[34:35]
	v_pk_add_f32 v[8:9], v[14:15], v[8:9]
	v_mov_b32_e32 v45, v33
	v_pk_fma_f32 v[6:7], v[6:7], s[0:1], v[28:29] op_sel:[0,0,1] op_sel_hi:[1,0,0] neg_lo:[0,0,1] neg_hi:[0,0,1]
	v_mov_b32_e32 v28, v31
	v_mov_b32_e32 v33, v43
	v_pk_fma_f32 v[30:31], v[2:3], s[8:9], v[24:25] op_sel:[0,0,1] op_sel_hi:[1,0,0]
	v_pk_fma_f32 v[2:3], v[2:3], s[8:9], v[24:25] op_sel:[0,0,1] op_sel_hi:[1,0,0] neg_lo:[0,0,1] neg_hi:[0,0,1]
	v_pk_add_f32 v[0:1], v[18:19], v[0:1]
	v_pk_add_f32 v[8:9], v[10:11], v[8:9]
	v_pk_fma_f32 v[26:27], v[4:5], s[0:1], v[26:27] op_sel_hi:[1,0,1]
	v_pk_fma_f32 v[50:51], v[48:49], s[0:1], v[50:51] op_sel_hi:[1,0,1]
	;; [unrolled: 1-line block ×3, first 2 shown]
	v_mov_b32_e32 v24, v31
	v_mov_b32_e32 v25, v2
	v_pk_add_f32 v[10:11], v[0:1], v[8:9] op_sel:[0,1] op_sel_hi:[1,0] neg_lo:[0,1] neg_hi:[0,1]
	v_pk_add_f32 v[0:1], v[0:1], v[8:9] op_sel:[0,1] op_sel_hi:[1,0]
	v_pk_mul_f32 v[56:57], v[50:51], s[0:1] op_sel_hi:[1,0]
	v_mov_b32_e32 v29, v6
	global_store_dwordx2 v[40:41], v[0:1], off
	v_pk_add_f32 v[0:1], v[4:5], v[24:25]
	v_mov_b32_e32 v44, v42
	v_pk_mul_f32 v[46:47], v[26:27], s[8:9] op_sel_hi:[1,0]
	v_pk_fma_f32 v[52:53], v[54:55], s[0:1], v[52:53] op_sel_hi:[1,0,1]
	v_pk_fma_f32 v[50:51], v[50:51], s[2:3], v[56:57] op_sel:[0,0,1] op_sel_hi:[1,1,0] neg_lo:[0,0,1] neg_hi:[0,0,1]
	global_store_dwordx2 v[60:61], v[0:1], off
	v_pk_add_f32 v[0:1], v[22:23], v[28:29]
	v_pk_fma_f32 v[44:45], v[38:39], s[0:1], v[44:45] op_sel_hi:[1,0,1]
	v_pk_fma_f32 v[26:27], v[26:27], s[6:7], v[46:47] op_sel:[0,0,1] op_sel_hi:[1,1,0] neg_lo:[0,0,1] neg_hi:[0,0,1]
	global_store_dwordx2 v[62:63], v[0:1], off
	v_pk_add_f32 v[0:1], v[52:53], v[50:51]
	global_store_dwordx2 v[64:65], v[0:1], off
	v_pk_add_f32 v[0:1], v[44:45], v[26:27]
	v_pk_add_f32 v[46:47], v[44:45], v[26:27] neg_lo:[0,1] neg_hi:[0,1]
	v_pk_add_f32 v[56:57], v[52:53], v[50:51] neg_lo:[0,1] neg_hi:[0,1]
	;; [unrolled: 1-line block ×4, first 2 shown]
	global_store_dwordx2 v[66:67], v[0:1], off
	global_store_dwordx2 v[68:69], v[10:11], off
	;; [unrolled: 1-line block ×6, first 2 shown]
.LBB0_15:
	s_endpgm
	.section	.rodata,"a",@progbits
	.p2align	6, 0x0
	.amdhsa_kernel fft_rtc_fwd_len3000_factors_10_3_10_10_wgs_100_tpt_100_halfLds_sp_op_CI_CI_sbrr_dirReg
		.amdhsa_group_segment_fixed_size 0
		.amdhsa_private_segment_fixed_size 0
		.amdhsa_kernarg_size 104
		.amdhsa_user_sgpr_count 2
		.amdhsa_user_sgpr_dispatch_ptr 0
		.amdhsa_user_sgpr_queue_ptr 0
		.amdhsa_user_sgpr_kernarg_segment_ptr 1
		.amdhsa_user_sgpr_dispatch_id 0
		.amdhsa_user_sgpr_kernarg_preload_length 0
		.amdhsa_user_sgpr_kernarg_preload_offset 0
		.amdhsa_user_sgpr_private_segment_size 0
		.amdhsa_uses_dynamic_stack 0
		.amdhsa_enable_private_segment 0
		.amdhsa_system_sgpr_workgroup_id_x 1
		.amdhsa_system_sgpr_workgroup_id_y 0
		.amdhsa_system_sgpr_workgroup_id_z 0
		.amdhsa_system_sgpr_workgroup_info 0
		.amdhsa_system_vgpr_workitem_id 0
		.amdhsa_next_free_vgpr 180
		.amdhsa_next_free_sgpr 32
		.amdhsa_accum_offset 180
		.amdhsa_reserve_vcc 1
		.amdhsa_float_round_mode_32 0
		.amdhsa_float_round_mode_16_64 0
		.amdhsa_float_denorm_mode_32 3
		.amdhsa_float_denorm_mode_16_64 3
		.amdhsa_dx10_clamp 1
		.amdhsa_ieee_mode 1
		.amdhsa_fp16_overflow 0
		.amdhsa_tg_split 0
		.amdhsa_exception_fp_ieee_invalid_op 0
		.amdhsa_exception_fp_denorm_src 0
		.amdhsa_exception_fp_ieee_div_zero 0
		.amdhsa_exception_fp_ieee_overflow 0
		.amdhsa_exception_fp_ieee_underflow 0
		.amdhsa_exception_fp_ieee_inexact 0
		.amdhsa_exception_int_div_zero 0
	.end_amdhsa_kernel
	.text
.Lfunc_end0:
	.size	fft_rtc_fwd_len3000_factors_10_3_10_10_wgs_100_tpt_100_halfLds_sp_op_CI_CI_sbrr_dirReg, .Lfunc_end0-fft_rtc_fwd_len3000_factors_10_3_10_10_wgs_100_tpt_100_halfLds_sp_op_CI_CI_sbrr_dirReg
                                        ; -- End function
	.section	.AMDGPU.csdata,"",@progbits
; Kernel info:
; codeLenInByte = 18776
; NumSgprs: 38
; NumVgprs: 180
; NumAgprs: 0
; TotalNumVgprs: 180
; ScratchSize: 0
; MemoryBound: 0
; FloatMode: 240
; IeeeMode: 1
; LDSByteSize: 0 bytes/workgroup (compile time only)
; SGPRBlocks: 4
; VGPRBlocks: 22
; NumSGPRsForWavesPerEU: 38
; NumVGPRsForWavesPerEU: 180
; AccumOffset: 180
; Occupancy: 2
; WaveLimiterHint : 1
; COMPUTE_PGM_RSRC2:SCRATCH_EN: 0
; COMPUTE_PGM_RSRC2:USER_SGPR: 2
; COMPUTE_PGM_RSRC2:TRAP_HANDLER: 0
; COMPUTE_PGM_RSRC2:TGID_X_EN: 1
; COMPUTE_PGM_RSRC2:TGID_Y_EN: 0
; COMPUTE_PGM_RSRC2:TGID_Z_EN: 0
; COMPUTE_PGM_RSRC2:TIDIG_COMP_CNT: 0
; COMPUTE_PGM_RSRC3_GFX90A:ACCUM_OFFSET: 44
; COMPUTE_PGM_RSRC3_GFX90A:TG_SPLIT: 0
	.text
	.p2alignl 6, 3212836864
	.fill 256, 4, 3212836864
	.type	__hip_cuid_af5307f3ca37f294,@object ; @__hip_cuid_af5307f3ca37f294
	.section	.bss,"aw",@nobits
	.globl	__hip_cuid_af5307f3ca37f294
__hip_cuid_af5307f3ca37f294:
	.byte	0                               ; 0x0
	.size	__hip_cuid_af5307f3ca37f294, 1

	.ident	"AMD clang version 19.0.0git (https://github.com/RadeonOpenCompute/llvm-project roc-6.4.0 25133 c7fe45cf4b819c5991fe208aaa96edf142730f1d)"
	.section	".note.GNU-stack","",@progbits
	.addrsig
	.addrsig_sym __hip_cuid_af5307f3ca37f294
	.amdgpu_metadata
---
amdhsa.kernels:
  - .agpr_count:     0
    .args:
      - .actual_access:  read_only
        .address_space:  global
        .offset:         0
        .size:           8
        .value_kind:     global_buffer
      - .offset:         8
        .size:           8
        .value_kind:     by_value
      - .actual_access:  read_only
        .address_space:  global
        .offset:         16
        .size:           8
        .value_kind:     global_buffer
      - .actual_access:  read_only
        .address_space:  global
        .offset:         24
        .size:           8
        .value_kind:     global_buffer
      - .actual_access:  read_only
        .address_space:  global
        .offset:         32
        .size:           8
        .value_kind:     global_buffer
      - .offset:         40
        .size:           8
        .value_kind:     by_value
      - .actual_access:  read_only
        .address_space:  global
        .offset:         48
        .size:           8
        .value_kind:     global_buffer
      - .actual_access:  read_only
        .address_space:  global
        .offset:         56
        .size:           8
        .value_kind:     global_buffer
      - .offset:         64
        .size:           4
        .value_kind:     by_value
      - .actual_access:  read_only
        .address_space:  global
        .offset:         72
        .size:           8
        .value_kind:     global_buffer
      - .actual_access:  read_only
        .address_space:  global
        .offset:         80
        .size:           8
        .value_kind:     global_buffer
      - .actual_access:  read_only
        .address_space:  global
        .offset:         88
        .size:           8
        .value_kind:     global_buffer
      - .actual_access:  write_only
        .address_space:  global
        .offset:         96
        .size:           8
        .value_kind:     global_buffer
    .group_segment_fixed_size: 0
    .kernarg_segment_align: 8
    .kernarg_segment_size: 104
    .language:       OpenCL C
    .language_version:
      - 2
      - 0
    .max_flat_workgroup_size: 100
    .name:           fft_rtc_fwd_len3000_factors_10_3_10_10_wgs_100_tpt_100_halfLds_sp_op_CI_CI_sbrr_dirReg
    .private_segment_fixed_size: 0
    .sgpr_count:     38
    .sgpr_spill_count: 0
    .symbol:         fft_rtc_fwd_len3000_factors_10_3_10_10_wgs_100_tpt_100_halfLds_sp_op_CI_CI_sbrr_dirReg.kd
    .uniform_work_group_size: 1
    .uses_dynamic_stack: false
    .vgpr_count:     180
    .vgpr_spill_count: 0
    .wavefront_size: 64
amdhsa.target:   amdgcn-amd-amdhsa--gfx950
amdhsa.version:
  - 1
  - 2
...

	.end_amdgpu_metadata
